;; amdgpu-corpus repo=ROCm/rocFFT kind=compiled arch=gfx906 opt=O3
	.text
	.amdgcn_target "amdgcn-amd-amdhsa--gfx906"
	.amdhsa_code_object_version 6
	.protected	fft_rtc_back_len1530_factors_17_3_6_5_wgs_102_tpt_102_halfLds_sp_ip_CI_unitstride_sbrr_C2R_dirReg ; -- Begin function fft_rtc_back_len1530_factors_17_3_6_5_wgs_102_tpt_102_halfLds_sp_ip_CI_unitstride_sbrr_C2R_dirReg
	.globl	fft_rtc_back_len1530_factors_17_3_6_5_wgs_102_tpt_102_halfLds_sp_ip_CI_unitstride_sbrr_C2R_dirReg
	.p2align	8
	.type	fft_rtc_back_len1530_factors_17_3_6_5_wgs_102_tpt_102_halfLds_sp_ip_CI_unitstride_sbrr_C2R_dirReg,@function
fft_rtc_back_len1530_factors_17_3_6_5_wgs_102_tpt_102_halfLds_sp_ip_CI_unitstride_sbrr_C2R_dirReg: ; @fft_rtc_back_len1530_factors_17_3_6_5_wgs_102_tpt_102_halfLds_sp_ip_CI_unitstride_sbrr_C2R_dirReg
; %bb.0:
	s_load_dwordx2 s[12:13], s[4:5], 0x50
	s_load_dwordx4 s[8:11], s[4:5], 0x0
	s_load_dwordx2 s[2:3], s[4:5], 0x18
	v_mul_u32_u24_e32 v1, 0x283, v0
	v_add_u32_sdwa v5, s6, v1 dst_sel:DWORD dst_unused:UNUSED_PAD src0_sel:DWORD src1_sel:WORD_1
	v_mov_b32_e32 v3, 0
	s_waitcnt lgkmcnt(0)
	v_cmp_lt_u64_e64 s[0:1], s[10:11], 2
	v_mov_b32_e32 v1, 0
	v_mov_b32_e32 v6, v3
	s_and_b64 vcc, exec, s[0:1]
	v_mov_b32_e32 v2, 0
	s_cbranch_vccnz .LBB0_8
; %bb.1:
	s_load_dwordx2 s[0:1], s[4:5], 0x10
	s_add_u32 s6, s2, 8
	s_addc_u32 s7, s3, 0
	v_mov_b32_e32 v1, 0
	v_mov_b32_e32 v2, 0
	s_waitcnt lgkmcnt(0)
	s_add_u32 s14, s0, 8
	s_addc_u32 s15, s1, 0
	s_mov_b64 s[16:17], 1
.LBB0_2:                                ; =>This Inner Loop Header: Depth=1
	s_load_dwordx2 s[18:19], s[14:15], 0x0
                                        ; implicit-def: $vgpr7_vgpr8
	s_waitcnt lgkmcnt(0)
	v_or_b32_e32 v4, s19, v6
	v_cmp_ne_u64_e32 vcc, 0, v[3:4]
	s_and_saveexec_b64 s[0:1], vcc
	s_xor_b64 s[20:21], exec, s[0:1]
	s_cbranch_execz .LBB0_4
; %bb.3:                                ;   in Loop: Header=BB0_2 Depth=1
	v_cvt_f32_u32_e32 v4, s18
	v_cvt_f32_u32_e32 v7, s19
	s_sub_u32 s0, 0, s18
	s_subb_u32 s1, 0, s19
	v_mac_f32_e32 v4, 0x4f800000, v7
	v_rcp_f32_e32 v4, v4
	v_mul_f32_e32 v4, 0x5f7ffffc, v4
	v_mul_f32_e32 v7, 0x2f800000, v4
	v_trunc_f32_e32 v7, v7
	v_mac_f32_e32 v4, 0xcf800000, v7
	v_cvt_u32_f32_e32 v7, v7
	v_cvt_u32_f32_e32 v4, v4
	v_mul_lo_u32 v8, s0, v7
	v_mul_hi_u32 v9, s0, v4
	v_mul_lo_u32 v11, s1, v4
	v_mul_lo_u32 v10, s0, v4
	v_add_u32_e32 v8, v9, v8
	v_add_u32_e32 v8, v8, v11
	v_mul_hi_u32 v9, v4, v10
	v_mul_lo_u32 v11, v4, v8
	v_mul_hi_u32 v13, v4, v8
	v_mul_hi_u32 v12, v7, v10
	v_mul_lo_u32 v10, v7, v10
	v_mul_hi_u32 v14, v7, v8
	v_add_co_u32_e32 v9, vcc, v9, v11
	v_addc_co_u32_e32 v11, vcc, 0, v13, vcc
	v_mul_lo_u32 v8, v7, v8
	v_add_co_u32_e32 v9, vcc, v9, v10
	v_addc_co_u32_e32 v9, vcc, v11, v12, vcc
	v_addc_co_u32_e32 v10, vcc, 0, v14, vcc
	v_add_co_u32_e32 v8, vcc, v9, v8
	v_addc_co_u32_e32 v9, vcc, 0, v10, vcc
	v_add_co_u32_e32 v4, vcc, v4, v8
	v_addc_co_u32_e32 v7, vcc, v7, v9, vcc
	v_mul_lo_u32 v8, s0, v7
	v_mul_hi_u32 v9, s0, v4
	v_mul_lo_u32 v10, s1, v4
	v_mul_lo_u32 v11, s0, v4
	v_add_u32_e32 v8, v9, v8
	v_add_u32_e32 v8, v8, v10
	v_mul_lo_u32 v12, v4, v8
	v_mul_hi_u32 v13, v4, v11
	v_mul_hi_u32 v14, v4, v8
	;; [unrolled: 1-line block ×3, first 2 shown]
	v_mul_lo_u32 v11, v7, v11
	v_mul_hi_u32 v9, v7, v8
	v_add_co_u32_e32 v12, vcc, v13, v12
	v_addc_co_u32_e32 v13, vcc, 0, v14, vcc
	v_mul_lo_u32 v8, v7, v8
	v_add_co_u32_e32 v11, vcc, v12, v11
	v_addc_co_u32_e32 v10, vcc, v13, v10, vcc
	v_addc_co_u32_e32 v9, vcc, 0, v9, vcc
	v_add_co_u32_e32 v8, vcc, v10, v8
	v_addc_co_u32_e32 v9, vcc, 0, v9, vcc
	v_add_co_u32_e32 v4, vcc, v4, v8
	v_addc_co_u32_e32 v9, vcc, v7, v9, vcc
	v_mad_u64_u32 v[7:8], s[0:1], v5, v9, 0
	v_mul_hi_u32 v10, v5, v4
	v_add_co_u32_e32 v11, vcc, v10, v7
	v_addc_co_u32_e32 v12, vcc, 0, v8, vcc
	v_mad_u64_u32 v[7:8], s[0:1], v6, v4, 0
	v_mad_u64_u32 v[9:10], s[0:1], v6, v9, 0
	v_add_co_u32_e32 v4, vcc, v11, v7
	v_addc_co_u32_e32 v4, vcc, v12, v8, vcc
	v_addc_co_u32_e32 v7, vcc, 0, v10, vcc
	v_add_co_u32_e32 v4, vcc, v4, v9
	v_addc_co_u32_e32 v9, vcc, 0, v7, vcc
	v_mul_lo_u32 v10, s19, v4
	v_mul_lo_u32 v11, s18, v9
	v_mad_u64_u32 v[7:8], s[0:1], s18, v4, 0
	v_add3_u32 v8, v8, v11, v10
	v_sub_u32_e32 v10, v6, v8
	v_mov_b32_e32 v11, s19
	v_sub_co_u32_e32 v7, vcc, v5, v7
	v_subb_co_u32_e64 v10, s[0:1], v10, v11, vcc
	v_subrev_co_u32_e64 v11, s[0:1], s18, v7
	v_subbrev_co_u32_e64 v10, s[0:1], 0, v10, s[0:1]
	v_cmp_le_u32_e64 s[0:1], s19, v10
	v_cndmask_b32_e64 v12, 0, -1, s[0:1]
	v_cmp_le_u32_e64 s[0:1], s18, v11
	v_cndmask_b32_e64 v11, 0, -1, s[0:1]
	v_cmp_eq_u32_e64 s[0:1], s19, v10
	v_cndmask_b32_e64 v10, v12, v11, s[0:1]
	v_add_co_u32_e64 v11, s[0:1], 2, v4
	v_addc_co_u32_e64 v12, s[0:1], 0, v9, s[0:1]
	v_add_co_u32_e64 v13, s[0:1], 1, v4
	v_addc_co_u32_e64 v14, s[0:1], 0, v9, s[0:1]
	v_subb_co_u32_e32 v8, vcc, v6, v8, vcc
	v_cmp_ne_u32_e64 s[0:1], 0, v10
	v_cmp_le_u32_e32 vcc, s19, v8
	v_cndmask_b32_e64 v10, v14, v12, s[0:1]
	v_cndmask_b32_e64 v12, 0, -1, vcc
	v_cmp_le_u32_e32 vcc, s18, v7
	v_cndmask_b32_e64 v7, 0, -1, vcc
	v_cmp_eq_u32_e32 vcc, s19, v8
	v_cndmask_b32_e32 v7, v12, v7, vcc
	v_cmp_ne_u32_e32 vcc, 0, v7
	v_cndmask_b32_e64 v7, v13, v11, s[0:1]
	v_cndmask_b32_e32 v8, v9, v10, vcc
	v_cndmask_b32_e32 v7, v4, v7, vcc
.LBB0_4:                                ;   in Loop: Header=BB0_2 Depth=1
	s_andn2_saveexec_b64 s[0:1], s[20:21]
	s_cbranch_execz .LBB0_6
; %bb.5:                                ;   in Loop: Header=BB0_2 Depth=1
	v_cvt_f32_u32_e32 v4, s18
	s_sub_i32 s20, 0, s18
	v_rcp_iflag_f32_e32 v4, v4
	v_mul_f32_e32 v4, 0x4f7ffffe, v4
	v_cvt_u32_f32_e32 v4, v4
	v_mul_lo_u32 v7, s20, v4
	v_mul_hi_u32 v7, v4, v7
	v_add_u32_e32 v4, v4, v7
	v_mul_hi_u32 v4, v5, v4
	v_mul_lo_u32 v7, v4, s18
	v_add_u32_e32 v8, 1, v4
	v_sub_u32_e32 v7, v5, v7
	v_subrev_u32_e32 v9, s18, v7
	v_cmp_le_u32_e32 vcc, s18, v7
	v_cndmask_b32_e32 v7, v7, v9, vcc
	v_cndmask_b32_e32 v4, v4, v8, vcc
	v_add_u32_e32 v8, 1, v4
	v_cmp_le_u32_e32 vcc, s18, v7
	v_cndmask_b32_e32 v7, v4, v8, vcc
	v_mov_b32_e32 v8, v3
.LBB0_6:                                ;   in Loop: Header=BB0_2 Depth=1
	s_or_b64 exec, exec, s[0:1]
	v_mul_lo_u32 v4, v8, s18
	v_mul_lo_u32 v11, v7, s19
	v_mad_u64_u32 v[9:10], s[0:1], v7, s18, 0
	s_load_dwordx2 s[0:1], s[6:7], 0x0
	s_add_u32 s16, s16, 1
	v_add3_u32 v4, v10, v11, v4
	v_sub_co_u32_e32 v5, vcc, v5, v9
	v_subb_co_u32_e32 v4, vcc, v6, v4, vcc
	s_waitcnt lgkmcnt(0)
	v_mul_lo_u32 v4, s0, v4
	v_mul_lo_u32 v6, s1, v5
	v_mad_u64_u32 v[1:2], s[0:1], s0, v5, v[1:2]
	s_addc_u32 s17, s17, 0
	s_add_u32 s6, s6, 8
	v_add3_u32 v2, v6, v2, v4
	v_mov_b32_e32 v4, s10
	v_mov_b32_e32 v5, s11
	s_addc_u32 s7, s7, 0
	v_cmp_ge_u64_e32 vcc, s[16:17], v[4:5]
	s_add_u32 s14, s14, 8
	s_addc_u32 s15, s15, 0
	s_cbranch_vccnz .LBB0_9
; %bb.7:                                ;   in Loop: Header=BB0_2 Depth=1
	v_mov_b32_e32 v5, v7
	v_mov_b32_e32 v6, v8
	s_branch .LBB0_2
.LBB0_8:
	v_mov_b32_e32 v8, v6
	v_mov_b32_e32 v7, v5
.LBB0_9:
	s_lshl_b64 s[0:1], s[10:11], 3
	s_add_u32 s0, s2, s0
	s_addc_u32 s1, s3, s1
	s_load_dwordx2 s[2:3], s[0:1], 0x0
	s_load_dwordx2 s[6:7], s[4:5], 0x20
	s_waitcnt lgkmcnt(0)
	v_mad_u64_u32 v[1:2], s[0:1], s2, v7, v[1:2]
	v_mul_lo_u32 v3, s2, v8
	v_mul_lo_u32 v4, s3, v7
	s_mov_b32 s0, 0x2828283
	v_mul_hi_u32 v5, v0, s0
	v_cmp_gt_u64_e64 s[0:1], s[6:7], v[7:8]
	v_add3_u32 v2, v4, v2, v3
	v_lshlrev_b64 v[40:41], 3, v[1:2]
	v_mul_u32_u24_e32 v3, 0x66, v5
	v_sub_u32_e32 v38, v0, v3
	s_and_saveexec_b64 s[2:3], s[0:1]
	s_cbranch_execz .LBB0_13
; %bb.10:
	v_mov_b32_e32 v39, 0
	v_mov_b32_e32 v0, s13
	v_add_co_u32_e32 v1, vcc, s12, v40
	v_lshlrev_b64 v[2:3], 3, v[38:39]
	v_addc_co_u32_e32 v0, vcc, v0, v41, vcc
	v_add_co_u32_e32 v2, vcc, v1, v2
	v_addc_co_u32_e32 v3, vcc, v0, v3, vcc
	s_movk_i32 s4, 0x1000
	v_add_co_u32_e32 v6, vcc, s4, v2
	v_addc_co_u32_e32 v7, vcc, 0, v3, vcc
	global_load_dwordx2 v[4:5], v[2:3], off offset:2448
	global_load_dwordx2 v[8:9], v[2:3], off offset:3264
	;; [unrolled: 1-line block ×5, first 2 shown]
	global_load_dwordx2 v[16:17], v[2:3], off
	global_load_dwordx2 v[18:19], v[2:3], off offset:1632
	global_load_dwordx2 v[20:21], v[2:3], off offset:816
	v_add_co_u32_e32 v2, vcc, 0x2000, v2
	v_addc_co_u32_e32 v3, vcc, 0, v3, vcc
	global_load_dwordx2 v[22:23], v[6:7], off offset:2432
	global_load_dwordx2 v[24:25], v[6:7], off offset:3248
	;; [unrolled: 1-line block ×7, first 2 shown]
	v_lshl_add_u32 v2, v38, 3, 0
	s_movk_i32 s4, 0x65
	v_add_u32_e32 v3, 0x400, v2
	v_cmp_eq_u32_e32 vcc, s4, v38
	v_add_u32_e32 v6, 0x800, v2
	v_add_u32_e32 v7, 0x1000, v2
	;; [unrolled: 1-line block ×5, first 2 shown]
	s_waitcnt vmcnt(8)
	ds_write2_b64 v3, v[18:19], v[4:5] offset0:76 offset1:178
	ds_write2_b64 v6, v[8:9], v[10:11] offset0:152 offset1:254
	s_waitcnt vmcnt(7)
	ds_write2_b64 v2, v[16:17], v[20:21] offset1:102
	ds_write2_b64 v7, v[12:13], v[14:15] offset0:100 offset1:202
	s_waitcnt vmcnt(5)
	ds_write2_b64 v36, v[22:23], v[24:25] offset0:48 offset1:150
	s_waitcnt vmcnt(3)
	;; [unrolled: 2-line block ×4, first 2 shown]
	ds_write_b64 v2, v[34:35] offset:11424
	s_and_saveexec_b64 s[4:5], vcc
	s_cbranch_execz .LBB0_12
; %bb.11:
	v_add_co_u32_e32 v1, vcc, 0x2000, v1
	v_addc_co_u32_e32 v2, vcc, 0, v0, vcc
	global_load_dwordx2 v[0:1], v[1:2], off offset:4048
	v_mov_b32_e32 v38, 0x65
	s_waitcnt vmcnt(0)
	ds_write_b64 v39, v[0:1] offset:12240
.LBB0_12:
	s_or_b64 exec, exec, s[4:5]
.LBB0_13:
	s_or_b64 exec, exec, s[2:3]
	v_lshlrev_b32_e32 v0, 3, v38
	v_add_u32_e32 v42, 0, v0
	s_waitcnt lgkmcnt(0)
	s_barrier
	v_sub_u32_e32 v4, 0, v0
	ds_read_b32 v5, v42
	ds_read_b32 v6, v4 offset:12240
	s_add_u32 s4, s8, 0x2f48
	s_addc_u32 s5, s9, 0
	v_cmp_ne_u32_e32 vcc, 0, v38
                                        ; implicit-def: $vgpr0_vgpr1
	s_waitcnt lgkmcnt(0)
	v_add_f32_e32 v2, v6, v5
	v_sub_f32_e32 v3, v5, v6
	s_and_saveexec_b64 s[2:3], vcc
	s_xor_b64 s[2:3], exec, s[2:3]
	s_cbranch_execz .LBB0_15
; %bb.14:
	v_mov_b32_e32 v39, 0
	v_lshlrev_b64 v[0:1], 3, v[38:39]
	v_mov_b32_e32 v2, s5
	v_add_co_u32_e32 v0, vcc, s4, v0
	v_addc_co_u32_e32 v1, vcc, v2, v1, vcc
	global_load_dwordx2 v[0:1], v[0:1], off
	ds_read_b32 v2, v4 offset:12244
	ds_read_b32 v3, v42 offset:4
	v_add_f32_e32 v7, v6, v5
	v_sub_f32_e32 v8, v5, v6
	s_waitcnt lgkmcnt(0)
	v_add_f32_e32 v9, v2, v3
	v_sub_f32_e32 v2, v3, v2
	s_waitcnt vmcnt(0)
	v_fma_f32 v10, v8, v1, v7
	v_fma_f32 v3, v9, v1, v2
	v_fma_f32 v5, -v8, v1, v7
	v_fma_f32 v6, v9, v1, -v2
	v_fma_f32 v2, -v0, v9, v10
	v_fmac_f32_e32 v3, v8, v0
	v_fmac_f32_e32 v5, v0, v9
	;; [unrolled: 1-line block ×3, first 2 shown]
	v_mov_b32_e32 v0, v38
	ds_write_b64 v4, v[5:6] offset:12240
	v_mov_b32_e32 v1, v39
.LBB0_15:
	s_andn2_saveexec_b64 s[2:3], s[2:3]
	s_cbranch_execz .LBB0_17
; %bb.16:
	v_mov_b32_e32 v7, 0
	ds_read_b64 v[0:1], v7 offset:6120
	s_waitcnt lgkmcnt(0)
	v_add_f32_e32 v5, v0, v0
	v_mul_f32_e32 v6, -2.0, v1
	v_mov_b32_e32 v0, 0
	v_mov_b32_e32 v1, 0
	ds_write_b64 v7, v[5:6] offset:6120
.LBB0_17:
	s_or_b64 exec, exec, s[2:3]
	v_lshlrev_b64 v[0:1], 3, v[0:1]
	v_mov_b32_e32 v5, s5
	v_add_co_u32_e32 v0, vcc, s4, v0
	v_addc_co_u32_e32 v1, vcc, v5, v1, vcc
	global_load_dwordx2 v[5:6], v[0:1], off offset:816
	global_load_dwordx2 v[7:8], v[0:1], off offset:1632
	;; [unrolled: 1-line block ×4, first 2 shown]
	ds_write_b64 v42, v[2:3]
	ds_read_b64 v[2:3], v42 offset:816
	ds_read_b64 v[13:14], v4 offset:11424
	global_load_dwordx2 v[15:16], v[0:1], off offset:4080
	s_movk_i32 s2, 0x1000
	s_waitcnt lgkmcnt(0)
	v_add_f32_e32 v17, v2, v13
	v_add_f32_e32 v18, v14, v3
	v_sub_f32_e32 v19, v2, v13
	v_sub_f32_e32 v2, v3, v14
	s_waitcnt vmcnt(4)
	v_fma_f32 v20, v19, v6, v17
	v_fma_f32 v3, v18, v6, v2
	v_fma_f32 v13, -v19, v6, v17
	v_fma_f32 v14, v18, v6, -v2
	v_fma_f32 v2, -v5, v18, v20
	v_fmac_f32_e32 v3, v19, v5
	v_fmac_f32_e32 v13, v5, v18
	;; [unrolled: 1-line block ×3, first 2 shown]
	ds_write_b64 v42, v[2:3] offset:816
	ds_write_b64 v4, v[13:14] offset:11424
	v_add_co_u32_e32 v13, vcc, s2, v0
	v_addc_co_u32_e32 v14, vcc, 0, v1, vcc
	ds_read_b64 v[2:3], v42 offset:1632
	ds_read_b64 v[5:6], v4 offset:10608
	global_load_dwordx2 v[13:14], v[13:14], off offset:800
	v_cmp_gt_u32_e64 s[2:3], 51, v38
	s_waitcnt lgkmcnt(0)
	v_add_f32_e32 v17, v2, v5
	v_add_f32_e32 v18, v6, v3
	v_sub_f32_e32 v19, v2, v5
	v_sub_f32_e32 v2, v3, v6
	s_waitcnt vmcnt(4)
	v_fma_f32 v20, v19, v8, v17
	v_fma_f32 v3, v18, v8, v2
	v_fma_f32 v5, -v19, v8, v17
	v_fma_f32 v6, v18, v8, -v2
	v_fma_f32 v2, -v7, v18, v20
	v_fmac_f32_e32 v3, v19, v7
	v_fmac_f32_e32 v5, v7, v18
	v_fmac_f32_e32 v6, v19, v7
	ds_write_b64 v42, v[2:3] offset:1632
	ds_write_b64 v4, v[5:6] offset:10608
	ds_read_b64 v[2:3], v42 offset:2448
	ds_read_b64 v[5:6], v4 offset:9792
	s_waitcnt lgkmcnt(0)
	v_add_f32_e32 v7, v2, v5
	v_add_f32_e32 v8, v6, v3
	v_sub_f32_e32 v17, v2, v5
	v_sub_f32_e32 v2, v3, v6
	s_waitcnt vmcnt(3)
	v_fma_f32 v18, v17, v10, v7
	v_fma_f32 v3, v8, v10, v2
	v_fma_f32 v5, -v17, v10, v7
	v_fma_f32 v6, v8, v10, -v2
	v_fma_f32 v2, -v9, v8, v18
	v_fmac_f32_e32 v3, v17, v9
	v_fmac_f32_e32 v5, v9, v8
	v_fmac_f32_e32 v6, v17, v9
	ds_write_b64 v42, v[2:3] offset:2448
	ds_write_b64 v4, v[5:6] offset:9792
	ds_read_b64 v[2:3], v42 offset:3264
	ds_read_b64 v[5:6], v4 offset:8976
	;; [unrolled: 18-line block ×4, first 2 shown]
	s_waitcnt lgkmcnt(0)
	v_add_f32_e32 v7, v2, v5
	v_add_f32_e32 v8, v6, v3
	v_sub_f32_e32 v9, v2, v5
	v_sub_f32_e32 v2, v3, v6
	s_waitcnt vmcnt(0)
	v_fma_f32 v10, v9, v14, v7
	v_fma_f32 v3, v8, v14, v2
	v_fma_f32 v5, -v9, v14, v7
	v_fma_f32 v6, v8, v14, -v2
	v_fma_f32 v2, -v13, v8, v10
	v_fmac_f32_e32 v3, v9, v13
	v_fmac_f32_e32 v5, v13, v8
	;; [unrolled: 1-line block ×3, first 2 shown]
	ds_write_b64 v42, v[2:3] offset:4896
	ds_write_b64 v4, v[5:6] offset:7344
	s_and_saveexec_b64 s[4:5], s[2:3]
	s_cbranch_execz .LBB0_19
; %bb.18:
	v_add_co_u32_e32 v0, vcc, 0x1000, v0
	v_addc_co_u32_e32 v1, vcc, 0, v1, vcc
	global_load_dwordx2 v[0:1], v[0:1], off offset:1616
	ds_read_b64 v[2:3], v42 offset:5712
	ds_read_b64 v[5:6], v4 offset:6528
	s_waitcnt lgkmcnt(0)
	v_add_f32_e32 v7, v2, v5
	v_add_f32_e32 v8, v6, v3
	v_sub_f32_e32 v9, v2, v5
	v_sub_f32_e32 v3, v3, v6
	s_waitcnt vmcnt(0)
	v_fma_f32 v10, v9, v1, v7
	v_fma_f32 v2, v8, v1, v3
	v_fma_f32 v5, -v9, v1, v7
	v_fma_f32 v6, v8, v1, -v3
	v_fma_f32 v1, -v0, v8, v10
	v_fmac_f32_e32 v2, v9, v0
	v_fmac_f32_e32 v5, v0, v8
	;; [unrolled: 1-line block ×3, first 2 shown]
	ds_write_b64 v42, v[1:2] offset:5712
	ds_write_b64 v4, v[5:6] offset:6528
.LBB0_19:
	s_or_b64 exec, exec, s[4:5]
	s_waitcnt lgkmcnt(0)
	s_barrier
	s_barrier
	ds_read2_b64 v[2:5], v42 offset1:90
	ds_read_b64 v[36:37], v42 offset:11520
	v_add_u32_e32 v43, 0x400, v42
	v_add_u32_e32 v39, 0x2400, v42
	ds_read2_b64 v[20:23], v43 offset0:52 offset1:142
	ds_read2_b64 v[8:11], v39 offset0:108 offset1:198
	s_waitcnt lgkmcnt(2)
	v_sub_f32_e32 v72, v5, v37
	v_add_f32_e32 v47, v36, v4
	s_mov_b32 s6, 0x3f6eb680
	v_mul_f32_e32 v63, 0xbeb8f4ab, v72
	s_waitcnt lgkmcnt(0)
	v_sub_f32_e32 v74, v21, v11
	v_add_f32_e32 v76, v37, v5
	v_fma_f32 v0, v47, s6, -v63
	s_mov_b32 s7, 0x3f3d2fb0
	v_add_f32_e32 v48, v10, v20
	v_mul_f32_e32 v64, 0xbf2c7751, v74
	v_add_f32_e32 v0, v2, v0
	v_fma_f32 v1, v48, s7, -v64
	v_mul_f32_e32 v66, 0x3f6eb680, v76
	v_add_f32_e32 v80, v11, v21
	v_add_f32_e32 v0, v1, v0
	v_sub_f32_e32 v50, v4, v36
	v_mov_b32_e32 v1, v66
	v_mul_f32_e32 v67, 0x3f3d2fb0, v80
	v_fmac_f32_e32 v1, 0xbeb8f4ab, v50
	v_sub_f32_e32 v51, v20, v10
	v_mov_b32_e32 v6, v67
	v_sub_f32_e32 v78, v23, v9
	v_add_f32_e32 v1, v3, v1
	v_fmac_f32_e32 v6, 0xbf2c7751, v51
	s_mov_b32 s10, 0x3ee437d1
	v_add_f32_e32 v49, v8, v22
	v_mul_f32_e32 v65, 0xbf65296c, v78
	v_add_f32_e32 v1, v6, v1
	v_fma_f32 v6, v49, s10, -v65
	v_add_f32_e32 v0, v6, v0
	v_add_u32_e32 v6, 0x2000, v42
	v_add_u32_e32 v45, 0x800, v42
	ds_read2_b64 v[12:15], v6 offset0:56 offset1:146
	ds_read2_b64 v[24:27], v45 offset0:104 offset1:194
	v_add_f32_e32 v84, v9, v23
	v_mul_f32_e32 v69, 0x3ee437d1, v84
	v_sub_f32_e32 v53, v22, v8
	v_mov_b32_e32 v6, v69
	s_waitcnt lgkmcnt(0)
	v_sub_f32_e32 v83, v25, v15
	v_fmac_f32_e32 v6, 0xbf65296c, v53
	s_mov_b32 s11, 0x3dbcf732
	v_add_f32_e32 v52, v14, v24
	v_mul_f32_e32 v68, 0xbf7ee86f, v83
	v_add_f32_e32 v87, v15, v25
	v_add_f32_e32 v1, v6, v1
	v_fma_f32 v6, v52, s11, -v68
	v_mul_f32_e32 v71, 0x3dbcf732, v87
	v_add_f32_e32 v0, v6, v0
	v_sub_f32_e32 v55, v24, v14
	v_mov_b32_e32 v6, v71
	v_sub_f32_e32 v86, v27, v13
	v_fmac_f32_e32 v6, 0xbf7ee86f, v55
	s_mov_b32 s14, 0xbe8c1d8e
	v_add_f32_e32 v54, v12, v26
	v_mul_f32_e32 v70, 0xbf763a35, v86
	v_add_f32_e32 v1, v6, v1
	v_fma_f32 v6, v54, s14, -v70
	v_add_f32_e32 v0, v6, v0
	v_add_u32_e32 v6, 0x1000, v42
	v_add_u32_e32 v46, 0x1800, v42
	ds_read2_b64 v[28:31], v6 offset0:28 offset1:118
	ds_read2_b64 v[16:19], v46 offset0:132 offset1:222
	v_add_f32_e32 v89, v13, v27
	v_mul_f32_e32 v75, 0xbe8c1d8e, v89
	v_sub_f32_e32 v56, v26, v12
	v_mov_b32_e32 v6, v75
	s_waitcnt lgkmcnt(0)
	v_sub_f32_e32 v88, v29, v19
	v_add_u32_e32 v44, 0x1400, v42
	v_fmac_f32_e32 v6, 0xbf763a35, v56
	s_mov_b32 s15, 0xbf1a4643
	v_add_f32_e32 v57, v18, v28
	v_mul_f32_e32 v73, 0xbf4c4adb, v88
	v_add_f32_e32 v94, v19, v29
	ds_read2_b64 v[32:35], v44 offset0:80 offset1:170
	v_add_f32_e32 v1, v6, v1
	v_fma_f32 v6, v57, s15, -v73
	v_mul_f32_e32 v79, 0xbf1a4643, v94
	v_add_f32_e32 v0, v6, v0
	v_sub_f32_e32 v59, v28, v18
	v_mov_b32_e32 v6, v79
	v_sub_f32_e32 v90, v31, v17
	v_fmac_f32_e32 v6, 0xbf4c4adb, v59
	s_mov_b32 s16, 0xbf59a7d5
	v_add_f32_e32 v58, v16, v30
	v_mul_f32_e32 v77, 0xbf06c442, v90
	v_add_f32_e32 v101, v17, v31
	v_add_f32_e32 v1, v6, v1
	v_fma_f32 v6, v58, s16, -v77
	v_mul_f32_e32 v81, 0xbf59a7d5, v101
	v_add_f32_e32 v0, v6, v0
	v_sub_f32_e32 v60, v30, v16
	v_mov_b32_e32 v6, v81
	s_waitcnt lgkmcnt(0)
	v_add_f32_e32 v97, v35, v33
	v_fmac_f32_e32 v6, 0xbf06c442, v60
	v_mul_f32_e32 v85, 0xbf7ba420, v97
	v_add_f32_e32 v1, v6, v1
	v_sub_f32_e32 v62, v32, v34
	v_mov_b32_e32 v6, v85
	v_sub_f32_e32 v99, v33, v35
	s_mov_b32 s17, 0xbf7ba420
	v_fmac_f32_e32 v6, 0xbe3c28d5, v62
	v_add_f32_e32 v61, v34, v32
	v_mul_f32_e32 v82, 0xbe3c28d5, v99
	v_mul_f32_e32 v91, 0xbf2c7751, v72
	v_fma_f32 v7, v61, s17, -v82
	v_add_f32_e32 v1, v6, v1
	v_fma_f32 v6, v47, s7, -v91
	v_mul_f32_e32 v92, 0xbf7ee86f, v74
	v_add_f32_e32 v0, v7, v0
	v_add_f32_e32 v6, v2, v6
	v_fma_f32 v7, v48, s11, -v92
	v_mul_f32_e32 v103, 0x3f3d2fb0, v76
	v_add_f32_e32 v6, v7, v6
	v_mov_b32_e32 v7, v103
	v_mul_f32_e32 v106, 0x3dbcf732, v80
	v_fmac_f32_e32 v7, 0xbf2c7751, v50
	v_mov_b32_e32 v93, v106
	v_add_f32_e32 v7, v3, v7
	v_fmac_f32_e32 v93, 0xbf7ee86f, v51
	v_add_f32_e32 v7, v93, v7
	v_mul_f32_e32 v93, 0xbf4c4adb, v78
	v_fma_f32 v95, v49, s15, -v93
	v_mul_f32_e32 v110, 0xbf1a4643, v84
	v_add_f32_e32 v6, v95, v6
	v_mov_b32_e32 v95, v110
	v_fmac_f32_e32 v95, 0xbf4c4adb, v53
	v_add_f32_e32 v7, v95, v7
	v_mul_f32_e32 v95, 0xbe3c28d5, v83
	v_fma_f32 v96, v52, s17, -v95
	v_mul_f32_e32 v112, 0xbf7ba420, v87
	v_add_f32_e32 v6, v96, v6
	v_mov_b32_e32 v96, v112
	;; [unrolled: 7-line block ×5, first 2 shown]
	v_fmac_f32_e32 v102, 0x3f65296c, v60
	v_mul_f32_e32 v116, 0x3f6eb680, v97
	v_add_f32_e32 v7, v102, v7
	v_mov_b32_e32 v102, v116
	v_mul_f32_e32 v111, 0x3eb8f4ab, v99
	v_fmac_f32_e32 v102, 0x3eb8f4ab, v62
	v_fma_f32 v104, v61, s6, -v111
	s_movk_i32 s4, 0x5a
	v_add_f32_e32 v6, v104, v6
	v_add_f32_e32 v7, v102, v7
	v_cmp_gt_u32_e32 vcc, s4, v38
	s_barrier
	s_and_saveexec_b64 s[4:5], vcc
	s_cbranch_execz .LBB0_21
; %bb.20:
	v_add_f32_e32 v5, v3, v5
	v_add_f32_e32 v5, v5, v21
	;; [unrolled: 1-line block ×22, first 2 shown]
	v_mul_f32_e32 v120, 0xbf06c442, v72
	v_add_f32_e32 v12, v16, v12
	v_add_f32_e32 v13, v17, v13
	;; [unrolled: 1-line block ×3, first 2 shown]
	v_mov_b32_e32 v14, v120
	v_mul_f32_e32 v121, 0x3f65296c, v74
	v_add_f32_e32 v13, v13, v15
	v_fmac_f32_e32 v14, 0xbf59a7d5, v47
	v_mov_b32_e32 v15, v121
	v_add_f32_e32 v14, v2, v14
	v_fmac_f32_e32 v15, 0x3ee437d1, v48
	v_mul_f32_e32 v122, 0xbf7ee86f, v78
	v_add_f32_e32 v14, v15, v14
	v_mov_b32_e32 v15, v122
	v_add_f32_e32 v9, v13, v9
	v_mul_f32_e32 v124, 0x3f4c4adb, v83
	v_fmac_f32_e32 v15, 0x3dbcf732, v49
	v_add_f32_e32 v11, v9, v11
	v_add_f32_e32 v8, v12, v8
	v_mov_b32_e32 v9, v124
	v_mul_f32_e32 v125, 0xbeb8f4ab, v86
	v_add_f32_e32 v14, v15, v14
	v_add_f32_e32 v8, v8, v10
	v_fmac_f32_e32 v9, 0xbf1a4643, v52
	v_mov_b32_e32 v10, v125
	v_add_f32_e32 v9, v9, v14
	v_fmac_f32_e32 v10, 0x3f6eb680, v54
	v_mul_f32_e32 v126, 0xbe3c28d5, v88
	v_add_f32_e32 v12, v10, v9
	v_add_f32_e32 v10, v8, v36
	v_mov_b32_e32 v8, v126
	v_fmac_f32_e32 v8, 0xbf7ba420, v57
	v_mul_f32_e32 v127, 0x3f2c7751, v90
	v_add_f32_e32 v8, v8, v12
	v_mov_b32_e32 v12, v127
	v_fmac_f32_e32 v12, 0x3f3d2fb0, v58
	v_mul_f32_e32 v128, 0xbf763a35, v99
	;; [unrolled: 4-line block ×3, first 2 shown]
	v_add_f32_e32 v8, v12, v8
	v_mov_b32_e32 v12, v129
	v_mul_f32_e32 v130, 0xbe8c1d8e, v80
	v_fmac_f32_e32 v12, 0x3f4c4adb, v50
	v_mov_b32_e32 v13, v130
	v_add_f32_e32 v12, v3, v12
	v_fmac_f32_e32 v13, 0xbf763a35, v51
	v_mul_f32_e32 v131, 0x3f6eb680, v84
	v_add_f32_e32 v12, v13, v12
	v_mov_b32_e32 v13, v131
	v_fmac_f32_e32 v13, 0x3eb8f4ab, v53
	v_mul_f32_e32 v132, 0xbf59a7d5, v87
	v_add_f32_e32 v12, v13, v12
	v_mov_b32_e32 v13, v132
	;; [unrolled: 4-line block ×6, first 2 shown]
	v_mul_f32_e32 v137, 0x3f763a35, v74
	v_fmac_f32_e32 v13, 0xbf1a4643, v47
	v_mov_b32_e32 v14, v137
	v_add_f32_e32 v13, v2, v13
	v_fmac_f32_e32 v14, 0xbe8c1d8e, v48
	v_mul_f32_e32 v138, 0xbeb8f4ab, v78
	v_mul_f32_e32 v102, 0xbf7ba420, v76
	v_add_f32_e32 v13, v14, v13
	v_mov_b32_e32 v14, v138
	v_mov_b32_e32 v104, v102
	v_fmac_f32_e32 v14, 0x3f6eb680, v49
	v_mul_f32_e32 v139, 0xbf06c442, v83
	v_fmac_f32_e32 v104, 0x3e3c28d5, v50
	v_add_f32_e32 v13, v14, v13
	v_mov_b32_e32 v14, v139
	v_add_f32_e32 v105, v3, v104
	v_mul_f32_e32 v104, 0x3f6eb680, v80
	v_fmac_f32_e32 v14, 0xbf59a7d5, v52
	v_mul_f32_e32 v140, 0x3f7ee86f, v86
	v_mov_b32_e32 v107, v104
	v_add_f32_e32 v13, v14, v13
	v_mov_b32_e32 v14, v140
	v_fmac_f32_e32 v107, 0xbeb8f4ab, v51
	v_fmac_f32_e32 v14, 0x3dbcf732, v54
	v_mul_f32_e32 v141, 0xbf2c7751, v88
	v_add_f32_e32 v107, v107, v105
	v_mul_f32_e32 v105, 0xbf59a7d5, v84
	v_add_f32_e32 v13, v14, v13
	v_mov_b32_e32 v14, v141
	v_mov_b32_e32 v108, v105
	v_fmac_f32_e32 v14, 0x3f3d2fb0, v57
	v_mul_f32_e32 v142, 0xbe3c28d5, v90
	v_fmac_f32_e32 v108, 0x3f06c442, v53
	v_add_f32_e32 v13, v14, v13
	v_mov_b32_e32 v14, v142
	v_add_f32_e32 v108, v108, v107
	v_mul_f32_e32 v107, 0x3f3d2fb0, v87
	v_fmac_f32_e32 v14, 0xbf7ba420, v58
	v_mul_f32_e32 v143, 0x3ee437d1, v97
	v_mov_b32_e32 v109, v107
	v_add_f32_e32 v14, v14, v13
	v_mov_b32_e32 v13, v143
	v_fmac_f32_e32 v109, 0xbf2c7751, v55
	v_fmac_f32_e32 v13, 0xbf65296c, v62
	v_mul_f32_e32 v144, 0x3f65296c, v99
	v_add_f32_e32 v109, v109, v108
	v_mul_f32_e32 v108, 0xbf1a4643, v89
	v_add_f32_e32 v13, v13, v12
	v_mov_b32_e32 v12, v144
	v_mov_b32_e32 v117, v108
	v_fmac_f32_e32 v12, 0x3ee437d1, v61
	v_mul_f32_e32 v145, 0xbe8c1d8e, v76
	v_fmac_f32_e32 v117, 0x3f4c4adb, v56
	v_add_f32_e32 v12, v12, v14
	v_mov_b32_e32 v14, v145
	v_mul_f32_e32 v146, 0xbf59a7d5, v80
	v_add_f32_e32 v117, v117, v109
	v_mul_f32_e32 v109, 0x3ee437d1, v94
	v_fmac_f32_e32 v14, 0x3f763a35, v50
	v_mov_b32_e32 v15, v146
	v_mov_b32_e32 v118, v109
	v_mul_f32_e32 v21, 0xbe8c1d8e, v101
	v_add_f32_e32 v14, v3, v14
	v_fmac_f32_e32 v15, 0xbf06c442, v51
	v_mul_f32_e32 v147, 0x3f3d2fb0, v84
	v_fmac_f32_e32 v118, 0xbf65296c, v59
	v_mov_b32_e32 v20, v21
	v_add_f32_e32 v14, v15, v14
	v_mov_b32_e32 v15, v147
	v_add_f32_e32 v117, v118, v117
	v_fmac_f32_e32 v20, 0x3f763a35, v60
	v_fmac_f32_e32 v15, 0xbf2c7751, v53
	v_mul_f32_e32 v148, 0x3ee437d1, v87
	v_add_f32_e32 v117, v20, v117
	v_mul_f32_e32 v20, 0xbe3c28d5, v72
	v_add_f32_e32 v14, v15, v14
	v_mov_b32_e32 v15, v148
	v_mov_b32_e32 v22, v20
	v_fmac_f32_e32 v15, 0x3f65296c, v55
	v_mul_f32_e32 v149, 0xbf7ba420, v89
	v_fmac_f32_e32 v22, 0xbf7ba420, v47
	v_add_f32_e32 v14, v15, v14
	v_mov_b32_e32 v15, v149
	v_add_f32_e32 v23, v2, v22
	v_mul_f32_e32 v22, 0x3eb8f4ab, v74
	v_fmac_f32_e32 v15, 0x3e3c28d5, v56
	v_mul_f32_e32 v150, 0x3dbcf732, v94
	v_mov_b32_e32 v118, v22
	v_add_f32_e32 v14, v15, v14
	v_mov_b32_e32 v15, v150
	v_fmac_f32_e32 v118, 0x3f6eb680, v48
	v_fmac_f32_e32 v15, 0xbf7ee86f, v59
	v_mul_f32_e32 v151, 0x3f6eb680, v101
	v_add_f32_e32 v118, v118, v23
	v_mul_f32_e32 v23, 0xbf06c442, v78
	v_add_f32_e32 v14, v15, v14
	v_mov_b32_e32 v15, v151
	v_mov_b32_e32 v24, v23
	v_mul_f32_e32 v25, 0x3f2c7751, v83
	v_fmac_f32_e32 v15, 0x3eb8f4ab, v60
	v_mul_f32_e32 v152, 0xbf763a35, v72
	v_fmac_f32_e32 v24, 0xbf59a7d5, v49
	v_mov_b32_e32 v26, v25
	v_add_f32_e32 v14, v15, v14
	v_mov_b32_e32 v15, v152
	v_mul_f32_e32 v153, 0x3f06c442, v74
	v_add_f32_e32 v24, v24, v118
	v_fmac_f32_e32 v26, 0x3f3d2fb0, v52
	v_fmac_f32_e32 v15, 0xbe8c1d8e, v47
	v_mov_b32_e32 v16, v153
	v_add_f32_e32 v24, v26, v24
	v_mul_f32_e32 v26, 0xbf4c4adb, v86
	v_add_f32_e32 v15, v2, v15
	v_fmac_f32_e32 v16, 0xbf59a7d5, v48
	v_mul_f32_e32 v154, 0x3f2c7751, v78
	v_mov_b32_e32 v27, v26
	v_add_f32_e32 v15, v16, v15
	v_mov_b32_e32 v16, v154
	v_fmac_f32_e32 v27, 0xbf1a4643, v54
	v_fmac_f32_e32 v16, 0x3f3d2fb0, v49
	v_mul_f32_e32 v155, 0xbf65296c, v83
	v_add_f32_e32 v118, v27, v24
	v_mul_f32_e32 v27, 0x3f65296c, v88
	v_add_f32_e32 v15, v16, v15
	v_mov_b32_e32 v16, v155
	v_mov_b32_e32 v4, v27
	v_mul_f32_e32 v28, 0xbf763a35, v90
	v_fmac_f32_e32 v16, 0x3ee437d1, v52
	v_mul_f32_e32 v156, 0xbe3c28d5, v86
	v_fmac_f32_e32 v4, 0x3ee437d1, v57
	v_mov_b32_e32 v5, v28
	v_mul_f32_e32 v29, 0x3f7ee86f, v99
	v_add_f32_e32 v15, v16, v15
	v_mov_b32_e32 v16, v156
	v_add_f32_e32 v4, v4, v118
	v_fmac_f32_e32 v5, 0xbe8c1d8e, v58
	v_mov_b32_e32 v30, v29
	v_fmac_f32_e32 v16, 0xbf7ba420, v54
	v_mul_f32_e32 v157, 0x3f7ee86f, v88
	v_add_f32_e32 v4, v5, v4
	v_fmac_f32_e32 v30, 0x3dbcf732, v61
	v_add_f32_e32 v15, v16, v15
	v_mov_b32_e32 v16, v157
	v_add_f32_e32 v4, v30, v4
	v_mul_f32_e32 v30, 0xbf59a7d5, v76
	v_fmac_f32_e32 v16, 0x3dbcf732, v57
	v_mul_f32_e32 v158, 0xbeb8f4ab, v90
	v_mov_b32_e32 v31, v30
	v_add_f32_e32 v15, v16, v15
	v_mov_b32_e32 v16, v158
	v_fmac_f32_e32 v31, 0x3f06c442, v50
	v_fmac_f32_e32 v16, 0x3f6eb680, v58
	v_mul_f32_e32 v159, 0xbf1a4643, v97
	v_add_f32_e32 v32, v3, v31
	v_mul_f32_e32 v31, 0x3ee437d1, v80
	v_add_f32_e32 v16, v16, v15
	v_mov_b32_e32 v15, v159
	v_mul_f32_e32 v24, 0x3dbcf732, v97
	v_mov_b32_e32 v33, v31
	v_fmac_f32_e32 v15, 0x3f4c4adb, v62
	v_mul_f32_e32 v160, 0xbf4c4adb, v99
	v_mov_b32_e32 v5, v24
	v_fmac_f32_e32 v33, 0xbf65296c, v51
	v_add_f32_e32 v15, v15, v14
	v_mov_b32_e32 v14, v160
	v_fmac_f32_e32 v5, 0xbf7ee86f, v62
	v_add_f32_e32 v33, v33, v32
	v_mul_f32_e32 v32, 0x3dbcf732, v84
	v_fmac_f32_e32 v14, 0xbf1a4643, v61
	v_mul_f32_e32 v161, 0x3dbcf732, v76
	v_add_f32_e32 v5, v5, v117
	v_mov_b32_e32 v117, v32
	v_add_f32_e32 v14, v14, v16
	v_mov_b32_e32 v16, v161
	v_mul_f32_e32 v162, 0xbf7ba420, v80
	v_fmac_f32_e32 v117, 0x3f7ee86f, v53
	v_fmac_f32_e32 v16, 0x3f7ee86f, v50
	v_mov_b32_e32 v17, v162
	v_add_f32_e32 v117, v117, v33
	v_mul_f32_e32 v33, 0xbf1a4643, v87
	v_add_f32_e32 v16, v3, v16
	v_fmac_f32_e32 v17, 0x3e3c28d5, v51
	v_mul_f32_e32 v163, 0xbe8c1d8e, v84
	v_mov_b32_e32 v118, v33
	v_add_f32_e32 v16, v17, v16
	v_mov_b32_e32 v17, v163
	v_fmac_f32_e32 v118, 0xbf4c4adb, v55
	v_fmac_f32_e32 v17, 0xbf763a35, v53
	v_mul_f32_e32 v164, 0x3f6eb680, v87
	v_add_f32_e32 v117, v118, v117
	v_mul_f32_e32 v118, 0x3f6eb680, v89
	v_add_f32_e32 v16, v17, v16
	v_mov_b32_e32 v17, v164
	v_mov_b32_e32 v18, v118
	v_fmac_f32_e32 v17, 0xbeb8f4ab, v55
	v_mul_f32_e32 v165, 0x3ee437d1, v89
	v_fmac_f32_e32 v18, 0x3eb8f4ab, v56
	v_add_f32_e32 v16, v17, v16
	v_mov_b32_e32 v17, v165
	v_add_f32_e32 v18, v18, v117
	v_mul_f32_e32 v117, 0xbf7ba420, v94
	v_fmac_f32_e32 v17, 0x3f65296c, v56
	v_mul_f32_e32 v166, 0xbf59a7d5, v94
	v_mov_b32_e32 v19, v117
	v_add_f32_e32 v16, v17, v16
	v_mov_b32_e32 v17, v166
	v_fmac_f32_e32 v19, 0x3e3c28d5, v59
	v_mul_f32_e32 v119, 0x3f3d2fb0, v101
	v_fmac_f32_e32 v17, 0x3f06c442, v59
	v_mul_f32_e32 v167, 0xbf1a4643, v101
	v_add_f32_e32 v18, v19, v18
	v_mov_b32_e32 v19, v119
	v_mul_f32_e32 v123, 0xbe8c1d8e, v97
	v_add_f32_e32 v16, v17, v16
	v_mov_b32_e32 v17, v167
	v_fmac_f32_e32 v19, 0xbf2c7751, v60
	v_mov_b32_e32 v9, v123
	v_fmac_f32_e32 v17, 0xbf4c4adb, v60
	v_mul_f32_e32 v168, 0xbf7ee86f, v72
	v_add_f32_e32 v18, v19, v18
	v_fmac_f32_e32 v9, 0x3f763a35, v62
	v_add_f32_e32 v16, v17, v16
	v_mov_b32_e32 v17, v168
	v_mul_f32_e32 v169, 0xbe3c28d5, v74
	v_add_f32_e32 v9, v9, v18
	v_fmac_f32_e32 v17, 0x3dbcf732, v47
	v_mov_b32_e32 v18, v169
	v_add_f32_e32 v17, v2, v17
	v_fmac_f32_e32 v18, 0xbf7ba420, v48
	v_mul_f32_e32 v170, 0x3f763a35, v78
	v_add_f32_e32 v17, v18, v17
	v_mov_b32_e32 v18, v170
	v_fmac_f32_e32 v18, 0xbe8c1d8e, v49
	v_mul_f32_e32 v171, 0x3eb8f4ab, v83
	v_add_f32_e32 v17, v18, v17
	v_mov_b32_e32 v18, v171
	;; [unrolled: 4-line block ×8, first 2 shown]
	v_mul_f32_e32 v80, 0xbf1a4643, v80
	v_fmac_f32_e32 v18, 0x3f65296c, v50
	v_mov_b32_e32 v19, v80
	v_add_f32_e32 v18, v3, v18
	v_fmac_f32_e32 v19, 0x3f4c4adb, v51
	v_mul_f32_e32 v84, 0xbf7ba420, v84
	v_add_f32_e32 v18, v19, v18
	v_mov_b32_e32 v19, v84
	v_fmac_f32_e32 v19, 0xbe3c28d5, v53
	v_mul_f32_e32 v87, 0xbe8c1d8e, v87
	v_add_f32_e32 v18, v19, v18
	v_mov_b32_e32 v19, v87
	;; [unrolled: 4-line block ×6, first 2 shown]
	v_mul_f32_e32 v74, 0xbf4c4adb, v74
	v_fmac_f32_e32 v19, 0x3ee437d1, v47
	v_mov_b32_e32 v34, v74
	v_add_f32_e32 v19, v2, v19
	v_fmac_f32_e32 v34, 0xbf1a4643, v48
	v_mul_f32_e32 v78, 0x3e3c28d5, v78
	v_add_f32_e32 v19, v34, v19
	v_mov_b32_e32 v34, v78
	v_fmac_f32_e32 v34, 0xbf7ba420, v49
	v_mul_f32_e32 v83, 0x3f763a35, v83
	v_add_f32_e32 v19, v34, v19
	v_mov_b32_e32 v34, v83
	;; [unrolled: 4-line block ×7, first 2 shown]
	v_fmac_f32_e32 v18, 0xbf59a7d5, v61
	v_add_f32_e32 v18, v18, v34
	v_mul_f32_e32 v34, 0xbf2c7751, v50
	v_mul_f32_e32 v36, 0x3f3d2fb0, v47
	v_add_f32_e32 v11, v11, v37
	v_sub_f32_e32 v34, v103, v34
	v_mul_f32_e32 v35, 0xbf7ee86f, v51
	v_add_f32_e32 v36, v36, v91
	v_mul_f32_e32 v37, 0x3dbcf732, v48
	v_sub_f32_e32 v35, v106, v35
	v_add_f32_e32 v34, v3, v34
	v_add_f32_e32 v37, v37, v92
	;; [unrolled: 1-line block ×4, first 2 shown]
	v_mul_f32_e32 v35, 0xbf4c4adb, v53
	v_add_f32_e32 v36, v37, v36
	v_mul_f32_e32 v37, 0xbf1a4643, v49
	v_sub_f32_e32 v35, v110, v35
	v_add_f32_e32 v37, v37, v93
	v_add_f32_e32 v34, v35, v34
	v_mul_f32_e32 v35, 0xbe3c28d5, v55
	v_add_f32_e32 v36, v37, v36
	v_mul_f32_e32 v37, 0xbf7ba420, v52
	v_sub_f32_e32 v35, v112, v35
	v_add_f32_e32 v37, v37, v95
	v_add_f32_e32 v34, v35, v34
	;; [unrolled: 6-line block ×6, first 2 shown]
	v_add_f32_e32 v34, v37, v36
	v_mul_f32_e32 v36, 0xbeb8f4ab, v50
	v_sub_f32_e32 v36, v66, v36
	v_mul_f32_e32 v66, 0x3f6eb680, v47
	v_mul_f32_e32 v37, 0xbf2c7751, v51
	v_add_f32_e32 v63, v66, v63
	v_mul_f32_e32 v66, 0x3f3d2fb0, v48
	v_sub_f32_e32 v37, v67, v37
	v_add_f32_e32 v36, v3, v36
	v_add_f32_e32 v64, v66, v64
	;; [unrolled: 1-line block ×4, first 2 shown]
	v_mul_f32_e32 v37, 0xbf65296c, v53
	v_add_f32_e32 v63, v64, v63
	v_mul_f32_e32 v64, 0x3ee437d1, v49
	v_sub_f32_e32 v37, v69, v37
	v_add_f32_e32 v64, v64, v65
	v_add_f32_e32 v36, v37, v36
	v_mul_f32_e32 v37, 0xbf7ee86f, v55
	v_add_f32_e32 v63, v64, v63
	v_mul_f32_e32 v64, 0x3dbcf732, v52
	v_sub_f32_e32 v37, v71, v37
	v_add_f32_e32 v64, v64, v68
	v_add_f32_e32 v36, v37, v36
	;; [unrolled: 6-line block ×5, first 2 shown]
	v_mul_f32_e32 v37, 0xbe3c28d5, v62
	v_add_f32_e32 v63, v64, v63
	v_mul_f32_e32 v64, 0xbf7ba420, v61
	v_fma_f32 v20, v47, s17, -v20
	v_sub_f32_e32 v37, v85, v37
	v_add_f32_e32 v64, v64, v82
	v_fmac_f32_e32 v102, 0xbe3c28d5, v50
	v_add_f32_e32 v20, v2, v20
	v_fma_f32 v22, v48, s6, -v22
	v_add_f32_e32 v37, v37, v36
	v_add_f32_e32 v36, v64, v63
	;; [unrolled: 1-line block ×3, first 2 shown]
	v_fmac_f32_e32 v104, 0x3eb8f4ab, v51
	v_add_f32_e32 v20, v22, v20
	v_fma_f32 v22, v49, s16, -v23
	v_add_f32_e32 v63, v104, v63
	v_fmac_f32_e32 v105, 0xbf06c442, v53
	v_add_f32_e32 v20, v22, v20
	v_fma_f32 v22, v52, s7, -v25
	v_add_f32_e32 v63, v105, v63
	;; [unrolled: 4-line block ×5, first 2 shown]
	v_fmac_f32_e32 v21, 0xbf763a35, v60
	v_add_f32_e32 v20, v22, v20
	v_fma_f32 v22, v61, s11, -v29
	v_fmac_f32_e32 v30, 0xbf06c442, v50
	v_add_f32_e32 v21, v21, v63
	v_fmac_f32_e32 v24, 0x3f7ee86f, v62
	v_add_f32_e32 v20, v22, v20
	v_add_f32_e32 v22, v3, v30
	v_fmac_f32_e32 v31, 0x3f65296c, v51
	v_fma_f32 v23, v47, s16, -v120
	v_add_f32_e32 v21, v24, v21
	v_add_f32_e32 v22, v31, v22
	v_fmac_f32_e32 v32, 0xbf7ee86f, v53
	v_add_f32_e32 v23, v2, v23
	v_fma_f32 v24, v48, s10, -v121
	v_add_f32_e32 v22, v32, v22
	v_fmac_f32_e32 v33, 0x3f4c4adb, v55
	v_add_f32_e32 v23, v24, v23
	v_fma_f32 v24, v49, s11, -v122
	;; [unrolled: 4-line block ×5, first 2 shown]
	v_add_f32_e32 v22, v119, v22
	v_add_f32_e32 v23, v24, v23
	v_fma_f32 v24, v58, s7, -v127
	v_fmac_f32_e32 v123, 0xbf763a35, v62
	v_add_f32_e32 v24, v24, v23
	v_add_f32_e32 v23, v123, v22
	v_fma_f32 v22, v61, s14, -v128
	v_fmac_f32_e32 v129, 0xbf4c4adb, v50
	v_add_f32_e32 v22, v22, v24
	v_add_f32_e32 v24, v3, v129
	v_fmac_f32_e32 v130, 0x3f763a35, v51
	v_add_f32_e32 v24, v130, v24
	v_fmac_f32_e32 v131, 0xbeb8f4ab, v53
	v_add_f32_e32 v24, v131, v24
	v_fmac_f32_e32 v132, 0xbf06c442, v55
	v_add_f32_e32 v24, v132, v24
	v_fmac_f32_e32 v133, 0x3f7ee86f, v56
	v_add_f32_e32 v24, v133, v24
	v_fmac_f32_e32 v134, 0xbf2c7751, v59
	v_add_f32_e32 v24, v134, v24
	v_fmac_f32_e32 v135, 0xbe3c28d5, v60
	v_add_f32_e32 v24, v135, v24
	v_fmac_f32_e32 v143, 0x3f65296c, v62
	v_add_f32_e32 v25, v143, v24
	v_fma_f32 v24, v47, s15, -v136
	v_add_f32_e32 v24, v2, v24
	v_fma_f32 v26, v48, s14, -v137
	v_add_f32_e32 v24, v26, v24
	v_fma_f32 v26, v49, s6, -v138
	v_add_f32_e32 v24, v26, v24
	v_fma_f32 v26, v52, s16, -v139
	v_add_f32_e32 v24, v26, v24
	v_fma_f32 v26, v54, s11, -v140
	v_add_f32_e32 v24, v26, v24
	v_fma_f32 v26, v57, s7, -v141
	v_add_f32_e32 v24, v26, v24
	v_fma_f32 v26, v58, s17, -v142
	v_add_f32_e32 v24, v26, v24
	v_fma_f32 v26, v61, s10, -v144
	v_fmac_f32_e32 v145, 0xbf763a35, v50
	v_add_f32_e32 v24, v26, v24
	v_add_f32_e32 v26, v3, v145
	v_fmac_f32_e32 v146, 0x3f06c442, v51
	v_add_f32_e32 v26, v146, v26
	v_fmac_f32_e32 v147, 0x3f2c7751, v53
	v_add_f32_e32 v26, v147, v26
	v_fmac_f32_e32 v148, 0xbf65296c, v55
	v_add_f32_e32 v26, v148, v26
	v_fmac_f32_e32 v149, 0xbe3c28d5, v56
	v_add_f32_e32 v26, v149, v26
	v_fmac_f32_e32 v150, 0x3f7ee86f, v59
	v_add_f32_e32 v26, v150, v26
	v_fmac_f32_e32 v151, 0xbeb8f4ab, v60
	v_add_f32_e32 v26, v151, v26
	v_fmac_f32_e32 v159, 0xbf4c4adb, v62
	v_add_f32_e32 v27, v159, v26
	v_fma_f32 v26, v47, s14, -v152
	v_add_f32_e32 v26, v2, v26
	v_fma_f32 v28, v48, s16, -v153
	v_add_f32_e32 v26, v28, v26
	v_fma_f32 v28, v49, s7, -v154
	v_add_f32_e32 v26, v28, v26
	v_fma_f32 v28, v52, s10, -v155
	v_add_f32_e32 v26, v28, v26
	v_fma_f32 v28, v54, s17, -v156
	v_add_f32_e32 v26, v28, v26
	v_fma_f32 v28, v57, s11, -v157
	v_add_f32_e32 v26, v28, v26
	v_fma_f32 v28, v58, s6, -v158
	;; [unrolled: 32-line block ×3, first 2 shown]
	v_add_f32_e32 v28, v30, v28
	v_fma_f32 v30, v61, s7, -v176
	v_add_f32_e32 v28, v30, v28
	v_fma_f32 v30, v47, s10, -v72
	v_fmac_f32_e32 v76, 0xbf65296c, v50
	v_add_f32_e32 v2, v2, v30
	v_fma_f32 v30, v48, s15, -v74
	v_add_f32_e32 v3, v3, v76
	v_fmac_f32_e32 v80, 0xbf4c4adb, v51
	v_add_f32_e32 v2, v30, v2
	v_fma_f32 v30, v49, s17, -v78
	v_add_f32_e32 v3, v80, v3
	;; [unrolled: 4-line block ×6, first 2 shown]
	v_fmac_f32_e32 v101, 0xbf7ee86f, v60
	v_add_f32_e32 v2, v30, v2
	v_fma_f32 v30, v61, s16, -v99
	s_movk_i32 s6, 0x88
	v_add_f32_e32 v3, v101, v3
	v_fmac_f32_e32 v97, 0xbf06c442, v62
	v_add_f32_e32 v2, v30, v2
	v_mad_u32_u24 v30, v38, s6, 0
	v_add_f32_e32 v3, v97, v3
	ds_write2_b64 v30, v[10:11], v[36:37] offset1:1
	ds_write2_b64 v30, v[34:35], v[18:19] offset0:2 offset1:3
	ds_write2_b64 v30, v[16:17], v[14:15] offset0:4 offset1:5
	;; [unrolled: 1-line block ×7, first 2 shown]
	ds_write_b64 v30, v[0:1] offset:128
.LBB0_21:
	s_or_b64 exec, exec, s[4:5]
	s_movk_i32 s4, 0xf1
	v_add_u32_e32 v48, 0x66, v38
	v_mul_lo_u16_sdwa v2, v38, s4 dst_sel:DWORD dst_unused:UNUSED_PAD src0_sel:BYTE_0 src1_sel:DWORD
	v_lshrrev_b16_e32 v65, 12, v2
	v_mul_lo_u16_sdwa v3, v48, s4 dst_sel:DWORD dst_unused:UNUSED_PAD src0_sel:BYTE_0 src1_sel:DWORD
	v_mul_lo_u16_e32 v2, 17, v65
	v_lshrrev_b16_e32 v67, 12, v3
	v_sub_u16_e32 v66, v38, v2
	v_mov_b32_e32 v2, 4
	v_mul_lo_u16_e32 v3, 17, v67
	v_lshlrev_b32_sdwa v10, v2, v66 dst_sel:DWORD dst_unused:UNUSED_PAD src0_sel:DWORD src1_sel:BYTE_0
	v_sub_u16_e32 v68, v48, v3
	s_waitcnt lgkmcnt(0)
	s_barrier
	v_lshlrev_b32_sdwa v11, v2, v68 dst_sel:DWORD dst_unused:UNUSED_PAD src0_sel:DWORD src1_sel:BYTE_0
	global_load_dwordx4 v[2:5], v10, s[8:9]
	global_load_dwordx4 v[12:15], v11, s[8:9]
	v_add_u32_e32 v47, 0xcc, v38
	s_mov_b32 s4, 0xf0f1
	v_mul_u32_u24_sdwa v10, v47, s4 dst_sel:DWORD dst_unused:UNUSED_PAD src0_sel:WORD_0 src1_sel:DWORD
	v_lshrrev_b32_e32 v69, 20, v10
	v_mul_lo_u16_e32 v10, 17, v69
	v_sub_u16_e32 v70, v47, v10
	v_add_u32_e32 v8, 0x132, v38
	v_lshlrev_b32_e32 v10, 4, v70
	v_mul_u32_u24_sdwa v11, v8, s4 dst_sel:DWORD dst_unused:UNUSED_PAD src0_sel:WORD_0 src1_sel:DWORD
	global_load_dwordx4 v[16:19], v10, s[8:9]
	v_lshrrev_b32_e32 v71, 20, v11
	v_mul_lo_u16_e32 v11, 17, v71
	v_sub_u16_e32 v72, v8, v11
	v_add_u32_e32 v9, 0x198, v38
	v_lshlrev_b32_e32 v8, 4, v72
	global_load_dwordx4 v[20:23], v8, s[8:9]
	v_mul_u32_u24_sdwa v8, v9, s4 dst_sel:DWORD dst_unused:UNUSED_PAD src0_sel:WORD_0 src1_sel:DWORD
	v_lshrrev_b32_e32 v73, 20, v8
	v_mul_lo_u16_e32 v8, 17, v73
	v_sub_u16_e32 v74, v9, v8
	v_lshlrev_b32_e32 v8, 4, v74
	global_load_dwordx4 v[24:27], v8, s[8:9]
	ds_read2_b64 v[28:31], v42 offset1:102
	ds_read2_b64 v[8:11], v45 offset0:152 offset1:254
	v_add_u32_e32 v75, 0x1c00, v42
	v_add_u32_e32 v45, 0x1000, v42
	ds_read2_b64 v[32:35], v43 offset0:76 offset1:178
	ds_read2_b64 v[49:52], v39 offset0:72 offset1:174
	;; [unrolled: 1-line block ×4, first 2 shown]
	ds_read_b64 v[36:37], v42 offset:11424
	ds_read2_b64 v[61:64], v45 offset0:100 offset1:202
	s_waitcnt vmcnt(0) lgkmcnt(0)
	s_barrier
	v_mul_f32_e32 v45, v3, v11
	v_mul_f32_e32 v46, v5, v58
	;; [unrolled: 1-line block ×3, first 2 shown]
	v_fmac_f32_e32 v45, v2, v10
	v_fmac_f32_e32 v46, v4, v57
	v_mul_f32_e32 v5, v5, v57
	v_fma_f32 v10, v2, v11, -v3
	v_add_f32_e32 v3, v45, v46
	v_mul_f32_e32 v76, v13, v62
	v_mul_f32_e32 v13, v13, v61
	;; [unrolled: 1-line block ×4, first 2 shown]
	v_fma_f32 v5, v4, v58, -v5
	v_fma_f32 v4, -0.5, v3, v28
	v_fmac_f32_e32 v76, v12, v61
	v_fma_f32 v11, v12, v62, -v13
	v_fmac_f32_e32 v77, v14, v59
	v_fma_f32 v12, v14, v60, -v15
	v_sub_f32_e32 v3, v10, v5
	v_mov_b32_e32 v14, v4
	v_fmac_f32_e32 v14, 0xbf5db3d7, v3
	v_fmac_f32_e32 v4, 0x3f5db3d7, v3
	v_add_f32_e32 v3, v29, v10
	v_add_f32_e32 v3, v3, v5
	;; [unrolled: 1-line block ×3, first 2 shown]
	v_fma_f32 v5, -0.5, v5, v29
	v_sub_f32_e32 v10, v45, v46
	v_mov_b32_e32 v15, v5
	v_mul_f32_e32 v78, v64, v17
	v_mul_f32_e32 v17, v63, v17
	v_fmac_f32_e32 v15, 0x3f5db3d7, v10
	v_fmac_f32_e32 v5, 0xbf5db3d7, v10
	v_add_f32_e32 v10, v30, v76
	v_fmac_f32_e32 v78, v63, v16
	v_fma_f32 v13, v64, v16, -v17
	v_add_f32_e32 v16, v10, v77
	v_add_f32_e32 v10, v76, v77
	v_mul_f32_e32 v79, v50, v19
	v_mul_f32_e32 v19, v49, v19
	v_fma_f32 v30, -0.5, v10, v30
	v_fmac_f32_e32 v79, v49, v18
	v_fma_f32 v49, v50, v18, -v19
	v_sub_f32_e32 v10, v11, v12
	v_mov_b32_e32 v18, v30
	v_fmac_f32_e32 v18, 0xbf5db3d7, v10
	v_fmac_f32_e32 v30, 0x3f5db3d7, v10
	v_add_f32_e32 v10, v31, v11
	v_add_f32_e32 v17, v10, v12
	;; [unrolled: 1-line block ×3, first 2 shown]
	v_fmac_f32_e32 v31, -0.5, v10
	v_sub_f32_e32 v10, v76, v77
	v_mov_b32_e32 v19, v31
	v_mul_f32_e32 v80, v54, v21
	v_mul_f32_e32 v21, v53, v21
	v_fmac_f32_e32 v19, 0x3f5db3d7, v10
	v_fmac_f32_e32 v31, 0xbf5db3d7, v10
	v_add_f32_e32 v10, v32, v78
	v_mul_f32_e32 v81, v52, v23
	v_mul_f32_e32 v23, v51, v23
	v_fmac_f32_e32 v80, v53, v20
	v_fma_f32 v50, v54, v20, -v21
	v_add_f32_e32 v20, v10, v79
	v_add_f32_e32 v10, v78, v79
	v_mul_f32_e32 v82, v56, v25
	v_mul_f32_e32 v25, v55, v25
	v_fmac_f32_e32 v81, v51, v22
	v_fma_f32 v51, v52, v22, -v23
	v_fma_f32 v22, -0.5, v10, v32
	v_fmac_f32_e32 v82, v55, v24
	v_fma_f32 v52, v56, v24, -v25
	v_sub_f32_e32 v10, v13, v49
	v_mov_b32_e32 v24, v22
	v_fmac_f32_e32 v24, 0xbf5db3d7, v10
	v_fmac_f32_e32 v22, 0x3f5db3d7, v10
	v_add_f32_e32 v10, v33, v13
	v_add_f32_e32 v21, v10, v49
	v_add_f32_e32 v10, v13, v49
	v_fma_f32 v23, -0.5, v10, v33
	v_sub_f32_e32 v10, v78, v79
	v_mov_b32_e32 v25, v23
	v_mul_f32_e32 v83, v37, v27
	v_mul_f32_e32 v2, v36, v27
	v_fmac_f32_e32 v25, 0x3f5db3d7, v10
	v_fmac_f32_e32 v23, 0xbf5db3d7, v10
	v_add_f32_e32 v10, v34, v80
	v_fmac_f32_e32 v83, v36, v26
	v_fma_f32 v36, v37, v26, -v2
	v_add_f32_e32 v26, v10, v81
	v_add_f32_e32 v10, v80, v81
	v_fma_f32 v34, -0.5, v10, v34
	v_add_f32_e32 v2, v28, v45
	v_sub_f32_e32 v10, v50, v51
	v_mov_b32_e32 v28, v34
	v_fmac_f32_e32 v28, 0xbf5db3d7, v10
	v_fmac_f32_e32 v34, 0x3f5db3d7, v10
	v_add_f32_e32 v10, v35, v50
	v_add_f32_e32 v27, v10, v51
	;; [unrolled: 1-line block ×3, first 2 shown]
	v_fmac_f32_e32 v35, -0.5, v10
	v_sub_f32_e32 v10, v80, v81
	v_mov_b32_e32 v29, v35
	v_add_f32_e32 v11, v82, v83
	v_fmac_f32_e32 v29, 0x3f5db3d7, v10
	v_fmac_f32_e32 v35, 0xbf5db3d7, v10
	v_add_f32_e32 v10, v8, v82
	v_fma_f32 v8, -0.5, v11, v8
	v_sub_f32_e32 v11, v52, v36
	v_mov_b32_e32 v12, v8
	v_add_f32_e32 v13, v52, v36
	v_fmac_f32_e32 v12, 0xbf5db3d7, v11
	v_fmac_f32_e32 v8, 0x3f5db3d7, v11
	v_add_f32_e32 v11, v9, v52
	v_fmac_f32_e32 v9, -0.5, v13
	v_sub_f32_e32 v32, v82, v83
	v_mov_b32_e32 v13, v9
	v_mov_b32_e32 v45, 3
	v_fmac_f32_e32 v13, 0x3f5db3d7, v32
	v_fmac_f32_e32 v9, 0xbf5db3d7, v32
	v_mul_u32_u24_e32 v32, 0x198, v65
	v_lshlrev_b32_sdwa v33, v45, v66 dst_sel:DWORD dst_unused:UNUSED_PAD src0_sel:DWORD src1_sel:BYTE_0
	v_add_f32_e32 v2, v2, v46
	v_add3_u32 v32, 0, v32, v33
	ds_write2_b64 v32, v[2:3], v[14:15] offset1:17
	ds_write_b64 v32, v[4:5] offset:272
	v_mul_u32_u24_e32 v2, 0x198, v67
	v_lshlrev_b32_sdwa v3, v45, v68 dst_sel:DWORD dst_unused:UNUSED_PAD src0_sel:DWORD src1_sel:BYTE_0
	v_add3_u32 v2, 0, v2, v3
	ds_write2_b64 v2, v[16:17], v[18:19] offset1:17
	ds_write_b64 v2, v[30:31] offset:272
	v_mul_u32_u24_e32 v2, 0x198, v69
	v_lshlrev_b32_e32 v3, 3, v70
	v_add3_u32 v2, 0, v2, v3
	ds_write2_b64 v2, v[20:21], v[24:25] offset1:17
	ds_write_b64 v2, v[22:23] offset:272
	v_mul_u32_u24_e32 v2, 0x198, v71
	v_lshlrev_b32_e32 v3, 3, v72
	;; [unrolled: 5-line block ×3, first 2 shown]
	v_add_f32_e32 v10, v10, v83
	v_add_f32_e32 v11, v11, v36
	v_add3_u32 v2, 0, v2, v3
	ds_write2_b64 v2, v[10:11], v[12:13] offset1:17
	ds_write_b64 v2, v[8:9] offset:272
	v_add_u32_e32 v2, 0xc00, v42
	s_waitcnt lgkmcnt(0)
	s_barrier
	ds_read2_b64 v[14:17], v42 offset1:102
	ds_read2_b64 v[18:21], v43 offset0:127 offset1:229
	ds_read2_b64 v[22:25], v2 offset0:126 offset1:228
	;; [unrolled: 1-line block ×5, first 2 shown]
	s_and_saveexec_b64 s[4:5], s[2:3]
	s_cbranch_execz .LBB0_23
; %bb.22:
	v_add_u32_e32 v0, 0x660, v42
	ds_read2_b64 v[10:13], v0 offset1:255
	v_add_u32_e32 v0, 0x1650, v42
	ds_read2_b64 v[4:7], v0 offset1:255
	;; [unrolled: 2-line block ×3, first 2 shown]
	s_waitcnt lgkmcnt(1)
	v_mov_b32_e32 v9, v5
	v_mov_b32_e32 v8, v4
.LBB0_23:
	s_or_b64 exec, exec, s[4:5]
	v_subrev_u32_e32 v4, 51, v38
	v_cndmask_b32_e64 v39, v4, v38, s[2:3]
	v_mul_i32_i24_e32 v4, 5, v39
	v_mov_b32_e32 v5, 0
	v_lshlrev_b64 v[43:44], 3, v[4:5]
	v_mov_b32_e32 v4, s9
	v_add_co_u32_e32 v43, vcc, s8, v43
	v_addc_co_u32_e32 v44, vcc, v4, v44, vcc
	s_movk_i32 s4, 0xa1
	global_load_dwordx4 v[49:52], v[43:44], off offset:272
	global_load_dwordx4 v[53:56], v[43:44], off offset:288
	global_load_dwordx2 v[65:66], v[43:44], off offset:304
	v_mul_lo_u16_sdwa v43, v48, s4 dst_sel:DWORD dst_unused:UNUSED_PAD src0_sel:BYTE_0 src1_sel:DWORD
	v_lshrrev_b16_e32 v46, 13, v43
	v_mul_lo_u16_e32 v43, 51, v46
	v_mov_b32_e32 v4, 5
	v_sub_u16_e32 v67, v48, v43
	v_mul_u32_u24_sdwa v4, v67, v4 dst_sel:DWORD dst_unused:UNUSED_PAD src0_sel:BYTE_0 src1_sel:DWORD
	v_lshlrev_b32_e32 v4, 3, v4
	global_load_dwordx4 v[57:60], v4, s[8:9] offset:272
	global_load_dwordx4 v[61:64], v4, s[8:9] offset:288
	global_load_dwordx2 v[43:44], v4, s[8:9] offset:304
	v_cmp_lt_u32_e32 vcc, 50, v38
	v_lshlrev_b32_e32 v39, 3, v39
	s_waitcnt vmcnt(0) lgkmcnt(0)
	s_barrier
	v_mul_f32_e32 v4, v50, v19
	v_mul_f32_e32 v50, v50, v18
	;; [unrolled: 1-line block ×10, first 2 shown]
	v_fmac_f32_e32 v4, v49, v18
	v_fma_f32 v49, v49, v19, -v50
	v_fmac_f32_e32 v68, v51, v22
	v_fma_f32 v18, v51, v23, -v52
	v_fma_f32 v19, v53, v27, -v54
	;; [unrolled: 1-line block ×4, first 2 shown]
	v_mul_f32_e32 v31, v62, v29
	v_mul_f32_e32 v35, v62, v28
	;; [unrolled: 1-line block ×3, first 2 shown]
	v_fmac_f32_e32 v69, v53, v26
	v_fmac_f32_e32 v70, v55, v30
	;; [unrolled: 1-line block ×3, first 2 shown]
	v_mul_f32_e32 v26, v58, v20
	v_mul_f32_e32 v51, v32, v64
	;; [unrolled: 1-line block ×3, first 2 shown]
	v_fmac_f32_e32 v31, v61, v28
	v_fma_f32 v28, v61, v29, -v35
	v_fmac_f32_e32 v52, v36, v43
	v_sub_f32_e32 v35, v19, v23
	v_add_f32_e32 v36, v49, v19
	v_add_f32_e32 v19, v19, v23
	v_mul_f32_e32 v34, v58, v21
	v_mul_f32_e32 v30, v60, v25
	;; [unrolled: 1-line block ×4, first 2 shown]
	v_fma_f32 v53, v57, v21, -v26
	v_fma_f32 v29, v33, v63, -v51
	v_add_f32_e32 v21, v68, v70
	v_add_f32_e32 v33, v69, v71
	v_fmac_f32_e32 v49, -0.5, v19
	v_fmac_f32_e32 v34, v57, v20
	v_fmac_f32_e32 v30, v59, v24
	v_fma_f32 v54, v59, v25, -v27
	v_fmac_f32_e32 v50, v32, v63
	v_fma_f32 v32, v37, v43, -v44
	v_add_f32_e32 v20, v14, v68
	v_sub_f32_e32 v24, v18, v22
	v_add_f32_e32 v25, v15, v18
	v_add_f32_e32 v18, v18, v22
	v_add_f32_e32 v27, v4, v69
	v_fma_f32 v43, -0.5, v21, v14
	v_fmac_f32_e32 v4, -0.5, v33
	v_sub_f32_e32 v14, v69, v71
	v_mov_b32_e32 v21, v49
	v_fma_f32 v44, -0.5, v18, v15
	v_mov_b32_e32 v19, v4
	v_fmac_f32_e32 v21, 0x3f5db3d7, v14
	v_sub_f32_e32 v26, v68, v70
	v_add_f32_e32 v25, v25, v22
	v_add_f32_e32 v22, v27, v71
	v_mov_b32_e32 v27, v43
	v_mov_b32_e32 v33, v44
	v_fmac_f32_e32 v4, 0x3f5db3d7, v35
	v_fmac_f32_e32 v19, 0xbf5db3d7, v35
	v_mul_f32_e32 v35, 0.5, v21
	v_add_f32_e32 v23, v36, v23
	v_fmac_f32_e32 v43, 0x3f5db3d7, v24
	v_fmac_f32_e32 v27, 0xbf5db3d7, v24
	;; [unrolled: 1-line block ×4, first 2 shown]
	v_mul_f32_e32 v24, 0xbf5db3d7, v21
	v_fmac_f32_e32 v35, 0x3f5db3d7, v19
	v_fmac_f32_e32 v44, 0xbf5db3d7, v26
	v_fmac_f32_e32 v24, 0.5, v19
	v_mul_f32_e32 v26, 0xbf5db3d7, v49
	v_add_f32_e32 v15, v25, v23
	v_add_f32_e32 v19, v33, v35
	v_mul_f32_e32 v36, -0.5, v49
	v_sub_f32_e32 v23, v25, v23
	v_sub_f32_e32 v25, v33, v35
	v_add_f32_e32 v33, v30, v50
	v_fmac_f32_e32 v26, -0.5, v4
	v_fmac_f32_e32 v36, 0x3f5db3d7, v4
	v_add_f32_e32 v4, v16, v30
	v_fma_f32 v16, -0.5, v33, v16
	v_sub_f32_e32 v33, v54, v29
	v_mov_b32_e32 v35, v16
	v_add_f32_e32 v37, v20, v70
	v_fmac_f32_e32 v35, 0xbf5db3d7, v33
	v_fmac_f32_e32 v16, 0x3f5db3d7, v33
	v_add_f32_e32 v33, v17, v54
	v_add_f32_e32 v14, v37, v22
	v_sub_f32_e32 v22, v37, v22
	v_add_f32_e32 v37, v33, v29
	v_add_f32_e32 v29, v54, v29
	v_fmac_f32_e32 v17, -0.5, v29
	v_add_f32_e32 v20, v43, v26
	v_sub_f32_e32 v26, v43, v26
	v_sub_f32_e32 v29, v30, v50
	v_mov_b32_e32 v43, v17
	v_fmac_f32_e32 v43, 0x3f5db3d7, v29
	v_fmac_f32_e32 v17, 0xbf5db3d7, v29
	v_add_f32_e32 v29, v34, v31
	v_add_f32_e32 v18, v27, v24
	;; [unrolled: 1-line block ×3, first 2 shown]
	v_sub_f32_e32 v24, v27, v24
	v_sub_f32_e32 v27, v44, v36
	v_add_f32_e32 v36, v29, v52
	v_add_f32_e32 v29, v31, v52
	v_fmac_f32_e32 v34, -0.5, v29
	v_sub_f32_e32 v29, v28, v32
	v_mov_b32_e32 v33, v34
	v_fmac_f32_e32 v33, 0xbf5db3d7, v29
	v_fmac_f32_e32 v34, 0x3f5db3d7, v29
	v_add_f32_e32 v29, v53, v28
	v_add_f32_e32 v28, v28, v32
	v_fmac_f32_e32 v53, -0.5, v28
	v_sub_f32_e32 v28, v31, v52
	v_mov_b32_e32 v31, v53
	v_fmac_f32_e32 v53, 0xbf5db3d7, v28
	v_add_f32_e32 v4, v4, v50
	v_mul_f32_e32 v50, 0xbf5db3d7, v53
	v_mul_f32_e32 v52, -0.5, v53
	v_fmac_f32_e32 v31, 0x3f5db3d7, v28
	v_add_f32_e32 v28, v4, v36
	v_fmac_f32_e32 v50, -0.5, v34
	v_fmac_f32_e32 v52, 0x3f5db3d7, v34
	v_sub_f32_e32 v34, v4, v36
	v_mov_b32_e32 v4, 0x990
	v_cndmask_b32_e32 v4, 0, v4, vcc
	v_mul_f32_e32 v49, 0xbf5db3d7, v31
	v_mul_f32_e32 v51, 0.5, v31
	v_add3_u32 v4, 0, v4, v39
	v_add_f32_e32 v44, v29, v32
	v_fmac_f32_e32 v49, 0.5, v33
	v_fmac_f32_e32 v51, 0x3f5db3d7, v33
	ds_write2_b64 v4, v[14:15], v[18:19] offset1:51
	ds_write2_b64 v4, v[20:21], v[22:23] offset0:102 offset1:153
	ds_write2_b64 v4, v[24:25], v[26:27] offset0:204 offset1:255
	v_mul_u32_u24_e32 v4, 0x990, v46
	v_lshlrev_b32_sdwa v14, v45, v67 dst_sel:DWORD dst_unused:UNUSED_PAD src0_sel:DWORD src1_sel:BYTE_0
	v_add_f32_e32 v30, v35, v49
	v_add_f32_e32 v29, v37, v44
	;; [unrolled: 1-line block ×3, first 2 shown]
	v_add3_u32 v4, 0, v4, v14
	v_add_f32_e32 v32, v16, v50
	v_add_f32_e32 v33, v17, v52
	v_sub_f32_e32 v36, v35, v49
	v_sub_f32_e32 v16, v16, v50
	;; [unrolled: 1-line block ×5, first 2 shown]
	ds_write2_b64 v4, v[28:29], v[30:31] offset1:51
	ds_write2_b64 v4, v[32:33], v[34:35] offset0:102 offset1:153
	ds_write2_b64 v4, v[36:37], v[16:17] offset0:204 offset1:255
	s_and_saveexec_b64 s[4:5], s[2:3]
	s_cbranch_execz .LBB0_25
; %bb.24:
	s_mov_b32 s2, 0xa0a1
	v_mul_u32_u24_sdwa v4, v47, s2 dst_sel:DWORD dst_unused:UNUSED_PAD src0_sel:WORD_0 src1_sel:DWORD
	v_lshrrev_b32_e32 v4, 21, v4
	v_mul_lo_u16_e32 v4, 51, v4
	v_sub_u16_e32 v4, v47, v4
	v_mul_u32_u24_e32 v14, 5, v4
	v_lshlrev_b32_e32 v24, 3, v14
	global_load_dwordx4 v[14:17], v24, s[8:9] offset:272
	global_load_dwordx4 v[18:21], v24, s[8:9] offset:288
	global_load_dwordx2 v[22:23], v24, s[8:9] offset:304
	v_lshl_add_u32 v4, v4, 3, 0
	v_add_u32_e32 v24, 0x2000, v4
	v_add_u32_e32 v4, 0x2800, v4
	s_waitcnt vmcnt(2)
	v_mul_f32_e32 v25, v8, v17
	s_waitcnt vmcnt(1)
	v_mul_f32_e32 v26, v0, v21
	v_mul_f32_e32 v21, v1, v21
	;; [unrolled: 1-line block ×3, first 2 shown]
	s_waitcnt vmcnt(0)
	v_mul_f32_e32 v29, v3, v23
	v_mul_f32_e32 v19, v6, v19
	;; [unrolled: 1-line block ×6, first 2 shown]
	v_fma_f32 v9, v9, v16, -v25
	v_fma_f32 v1, v1, v20, -v26
	v_fmac_f32_e32 v21, v0, v20
	v_fmac_f32_e32 v28, v6, v18
	;; [unrolled: 1-line block ×3, first 2 shown]
	v_fma_f32 v0, v7, v18, -v19
	v_fma_f32 v2, v3, v22, -v23
	v_fmac_f32_e32 v17, v8, v16
	v_fmac_f32_e32 v27, v12, v14
	v_fma_f32 v3, v13, v14, -v15
	v_add_f32_e32 v6, v9, v1
	v_add_f32_e32 v8, v28, v29
	;; [unrolled: 1-line block ×3, first 2 shown]
	v_sub_f32_e32 v7, v17, v21
	v_sub_f32_e32 v14, v28, v29
	v_add_f32_e32 v15, v11, v9
	v_add_f32_e32 v16, v17, v21
	;; [unrolled: 1-line block ×4, first 2 shown]
	v_fma_f32 v11, -0.5, v6, v11
	v_fma_f32 v6, -0.5, v8, v27
	v_fma_f32 v8, -0.5, v13, v3
	v_sub_f32_e32 v12, v0, v2
	v_add_f32_e32 v0, v3, v0
	v_add_f32_e32 v3, v15, v1
	;; [unrolled: 1-line block ×4, first 2 shown]
	v_mov_b32_e32 v17, v6
	v_mov_b32_e32 v18, v8
	v_fmac_f32_e32 v8, 0x3f5db3d7, v14
	v_sub_f32_e32 v9, v9, v1
	v_add_f32_e32 v2, v0, v2
	v_fma_f32 v10, -0.5, v16, v10
	v_fmac_f32_e32 v6, 0xbf5db3d7, v12
	v_fmac_f32_e32 v17, 0x3f5db3d7, v12
	;; [unrolled: 1-line block ×3, first 2 shown]
	v_mul_f32_e32 v12, 0.5, v8
	v_mul_f32_e32 v8, 0xbf5db3d7, v8
	v_mov_b32_e32 v16, v11
	v_fmac_f32_e32 v11, 0x3f5db3d7, v7
	v_sub_f32_e32 v1, v3, v2
	v_mov_b32_e32 v19, v10
	v_fmac_f32_e32 v10, 0xbf5db3d7, v9
	v_sub_f32_e32 v0, v13, v15
	v_add_f32_e32 v3, v3, v2
	v_add_f32_e32 v2, v13, v15
	v_mul_f32_e32 v13, -0.5, v18
	v_fmac_f32_e32 v12, 0x3f5db3d7, v6
	v_mul_f32_e32 v14, 0xbf5db3d7, v18
	v_fmac_f32_e32 v8, 0.5, v6
	v_fmac_f32_e32 v16, 0xbf5db3d7, v7
	v_fmac_f32_e32 v19, 0x3f5db3d7, v9
	;; [unrolled: 1-line block ×3, first 2 shown]
	v_fmac_f32_e32 v14, -0.5, v17
	v_sub_f32_e32 v6, v10, v8
	v_add_f32_e32 v9, v11, v12
	v_add_f32_e32 v8, v10, v8
	v_sub_f32_e32 v7, v11, v12
	v_sub_f32_e32 v11, v16, v13
	;; [unrolled: 1-line block ×3, first 2 shown]
	v_add_f32_e32 v13, v16, v13
	v_add_f32_e32 v12, v19, v14
	ds_write2_b64 v24, v[2:3], v[8:9] offset0:200 offset1:251
	ds_write2_b64 v4, v[12:13], v[0:1] offset0:46 offset1:97
	ds_write2_b64 v4, v[6:7], v[10:11] offset0:148 offset1:199
.LBB0_25:
	s_or_b64 exec, exec, s[4:5]
	v_lshlrev_b32_e32 v4, 2, v38
	v_lshlrev_b64 v[0:1], 3, v[4:5]
	v_mov_b32_e32 v20, s9
	v_add_co_u32_e32 v10, vcc, s8, v0
	v_addc_co_u32_e32 v11, vcc, v20, v1, vcc
	v_lshlrev_b32_e32 v4, 2, v48
	s_waitcnt lgkmcnt(0)
	s_barrier
	global_load_dwordx4 v[0:3], v[10:11], off offset:2312
	global_load_dwordx4 v[6:9], v[10:11], off offset:2328
	v_lshlrev_b64 v[10:11], 3, v[4:5]
	v_lshlrev_b32_e32 v4, 2, v47
	v_add_co_u32_e32 v18, vcc, s8, v10
	v_lshlrev_b64 v[4:5], 3, v[4:5]
	v_addc_co_u32_e32 v19, vcc, v20, v11, vcc
	v_add_co_u32_e32 v4, vcc, s8, v4
	global_load_dwordx4 v[10:13], v[18:19], off offset:2312
	global_load_dwordx4 v[14:17], v[18:19], off offset:2328
	v_addc_co_u32_e32 v5, vcc, v20, v5, vcc
	global_load_dwordx4 v[18:21], v[4:5], off offset:2312
	global_load_dwordx4 v[22:25], v[4:5], off offset:2328
	v_add_u32_e32 v39, 0x400, v42
	v_add_u32_e32 v4, 0xc00, v42
	;; [unrolled: 1-line block ×5, first 2 shown]
	ds_read2_b64 v[26:29], v42 offset1:102
	v_add_u32_e32 v59, 0x1800, v42
	ds_read2_b64 v[30:33], v39 offset0:76 offset1:178
	ds_read2_b64 v[34:37], v4 offset0:126 offset1:228
	;; [unrolled: 1-line block ×4, first 2 shown]
	ds_read2_b32 v[4:5], v4 offset0:48 offset1:49
	ds_read2_b64 v[51:54], v51 offset0:74 offset1:176
	ds_read2_b64 v[55:58], v55 offset0:46 offset1:148
	s_waitcnt vmcnt(0) lgkmcnt(0)
	s_barrier
	v_mul_f32_e32 v60, v1, v33
	v_mul_f32_e32 v1, v1, v32
	;; [unrolled: 1-line block ×8, first 2 shown]
	v_fmac_f32_e32 v60, v0, v32
	v_fma_f32 v32, v0, v33, -v1
	v_fmac_f32_e32 v61, v2, v36
	v_fma_f32 v36, v6, v44, -v7
	v_mul_f32_e32 v0, v11, v4
	v_mul_f32_e32 v44, v52, v13
	;; [unrolled: 1-line block ×3, first 2 shown]
	v_fma_f32 v33, v2, v37, -v3
	v_fmac_f32_e32 v62, v6, v43
	v_fmac_f32_e32 v63, v8, v49
	v_fma_f32 v37, v8, v50, -v9
	v_mul_f32_e32 v49, v46, v15
	v_mul_f32_e32 v2, v45, v15
	;; [unrolled: 1-line block ×3, first 2 shown]
	v_fma_f32 v50, v5, v10, -v0
	v_fmac_f32_e32 v44, v51, v12
	v_fma_f32 v51, v52, v12, -v1
	v_mul_f32_e32 v52, v35, v19
	v_mul_f32_e32 v0, v34, v19
	;; [unrolled: 1-line block ×4, first 2 shown]
	v_fmac_f32_e32 v49, v45, v14
	v_fma_f32 v45, v46, v14, -v2
	v_fma_f32 v46, v56, v16, -v3
	v_mul_f32_e32 v56, v48, v23
	v_mul_f32_e32 v2, v47, v23
	v_fmac_f32_e32 v52, v34, v18
	v_fma_f32 v34, v35, v18, -v0
	v_fma_f32 v35, v54, v20, -v1
	v_add_f32_e32 v1, v61, v62
	v_mul_f32_e32 v43, v5, v11
	v_fmac_f32_e32 v56, v47, v22
	v_fma_f32 v47, v48, v22, -v2
	v_fma_f32 v2, -0.5, v1, v26
	v_fmac_f32_e32 v43, v10, v4
	v_sub_f32_e32 v1, v32, v37
	v_mov_b32_e32 v4, v2
	v_fmac_f32_e32 v4, 0xbf737871, v1
	v_sub_f32_e32 v3, v33, v36
	v_sub_f32_e32 v5, v60, v61
	;; [unrolled: 1-line block ×3, first 2 shown]
	v_fmac_f32_e32 v2, 0x3f737871, v1
	v_fmac_f32_e32 v4, 0xbf167918, v3
	v_add_f32_e32 v5, v5, v6
	v_fmac_f32_e32 v2, 0x3f167918, v3
	v_fmac_f32_e32 v4, 0x3e9e377a, v5
	v_fmac_f32_e32 v2, 0x3e9e377a, v5
	v_add_f32_e32 v5, v60, v63
	v_fma_f32 v6, -0.5, v5, v26
	v_mov_b32_e32 v8, v6
	v_fmac_f32_e32 v8, 0x3f737871, v3
	v_sub_f32_e32 v5, v61, v60
	v_sub_f32_e32 v7, v62, v63
	v_fmac_f32_e32 v6, 0xbf737871, v3
	v_add_f32_e32 v3, v33, v36
	v_fmac_f32_e32 v8, 0xbf167918, v1
	v_add_f32_e32 v5, v5, v7
	v_fmac_f32_e32 v6, 0x3f167918, v1
	v_fma_f32 v3, -0.5, v3, v27
	v_fmac_f32_e32 v8, 0x3e9e377a, v5
	v_fmac_f32_e32 v6, 0x3e9e377a, v5
	v_sub_f32_e32 v10, v60, v63
	v_mov_b32_e32 v5, v3
	v_fmac_f32_e32 v5, 0x3f737871, v10
	v_sub_f32_e32 v11, v61, v62
	v_sub_f32_e32 v7, v32, v33
	;; [unrolled: 1-line block ×3, first 2 shown]
	v_fmac_f32_e32 v3, 0xbf737871, v10
	v_fmac_f32_e32 v5, 0x3f167918, v11
	v_add_f32_e32 v7, v7, v9
	v_fmac_f32_e32 v3, 0xbf167918, v11
	v_fmac_f32_e32 v5, 0x3e9e377a, v7
	;; [unrolled: 1-line block ×3, first 2 shown]
	v_add_f32_e32 v7, v32, v37
	v_fma_f32 v7, -0.5, v7, v27
	v_mov_b32_e32 v9, v7
	v_fmac_f32_e32 v9, 0xbf737871, v11
	v_sub_f32_e32 v12, v33, v32
	v_sub_f32_e32 v13, v36, v37
	v_fmac_f32_e32 v7, 0x3f737871, v11
	v_fmac_f32_e32 v9, 0x3f167918, v10
	v_add_f32_e32 v12, v12, v13
	v_fmac_f32_e32 v7, 0xbf167918, v10
	v_add_f32_e32 v11, v44, v49
	v_fmac_f32_e32 v9, 0x3e9e377a, v12
	v_fmac_f32_e32 v7, 0x3e9e377a, v12
	v_fma_f32 v12, -0.5, v11, v28
	v_fmac_f32_e32 v15, v55, v16
	v_sub_f32_e32 v11, v50, v46
	v_mov_b32_e32 v14, v12
	v_fmac_f32_e32 v14, 0xbf737871, v11
	v_sub_f32_e32 v13, v51, v45
	v_sub_f32_e32 v16, v43, v44
	;; [unrolled: 1-line block ×3, first 2 shown]
	v_fmac_f32_e32 v12, 0x3f737871, v11
	v_fmac_f32_e32 v14, 0xbf167918, v13
	v_add_f32_e32 v16, v16, v17
	v_fmac_f32_e32 v12, 0x3f167918, v13
	v_fmac_f32_e32 v14, 0x3e9e377a, v16
	;; [unrolled: 1-line block ×3, first 2 shown]
	v_add_f32_e32 v16, v43, v15
	v_add_f32_e32 v10, v28, v43
	v_fma_f32 v28, -0.5, v16, v28
	v_mov_b32_e32 v16, v28
	v_add_f32_e32 v10, v10, v44
	v_fmac_f32_e32 v16, 0x3f737871, v13
	v_fmac_f32_e32 v28, 0xbf737871, v13
	v_add_f32_e32 v13, v51, v45
	v_add_f32_e32 v10, v10, v49
	v_sub_f32_e32 v17, v44, v43
	v_sub_f32_e32 v18, v49, v15
	v_fma_f32 v13, -0.5, v13, v29
	v_mul_f32_e32 v55, v54, v21
	v_add_f32_e32 v10, v10, v15
	v_fmac_f32_e32 v16, 0xbf167918, v11
	v_add_f32_e32 v17, v17, v18
	v_fmac_f32_e32 v28, 0x3f167918, v11
	v_sub_f32_e32 v18, v43, v15
	v_mov_b32_e32 v15, v13
	v_fmac_f32_e32 v55, v53, v20
	v_fmac_f32_e32 v16, 0x3e9e377a, v17
	;; [unrolled: 1-line block ×4, first 2 shown]
	v_sub_f32_e32 v19, v44, v49
	v_sub_f32_e32 v17, v50, v51
	;; [unrolled: 1-line block ×3, first 2 shown]
	v_fmac_f32_e32 v13, 0xbf737871, v18
	v_fmac_f32_e32 v15, 0x3f167918, v19
	v_add_f32_e32 v17, v17, v20
	v_fmac_f32_e32 v13, 0xbf167918, v19
	v_fmac_f32_e32 v15, 0x3e9e377a, v17
	;; [unrolled: 1-line block ×3, first 2 shown]
	v_add_f32_e32 v17, v50, v46
	v_add_f32_e32 v11, v29, v50
	v_fmac_f32_e32 v29, -0.5, v17
	v_mov_b32_e32 v17, v29
	v_fmac_f32_e32 v17, 0xbf737871, v19
	v_sub_f32_e32 v20, v51, v50
	v_sub_f32_e32 v21, v45, v46
	v_fmac_f32_e32 v29, 0x3f737871, v19
	v_mul_f32_e32 v0, v57, v25
	v_fmac_f32_e32 v17, 0x3f167918, v18
	v_add_f32_e32 v20, v20, v21
	v_fmac_f32_e32 v29, 0xbf167918, v18
	v_add_f32_e32 v19, v55, v56
	v_mul_f32_e32 v23, v58, v25
	v_fma_f32 v48, v58, v24, -v0
	v_fmac_f32_e32 v17, 0x3e9e377a, v20
	v_fmac_f32_e32 v29, 0x3e9e377a, v20
	v_fma_f32 v20, -0.5, v19, v30
	v_fmac_f32_e32 v23, v57, v24
	v_sub_f32_e32 v19, v34, v48
	v_mov_b32_e32 v22, v20
	v_fmac_f32_e32 v22, 0xbf737871, v19
	v_sub_f32_e32 v21, v35, v47
	v_sub_f32_e32 v24, v52, v55
	v_sub_f32_e32 v25, v23, v56
	v_fmac_f32_e32 v20, 0x3f737871, v19
	v_fmac_f32_e32 v22, 0xbf167918, v21
	v_add_f32_e32 v24, v24, v25
	v_fmac_f32_e32 v20, 0x3f167918, v21
	v_fmac_f32_e32 v22, 0x3e9e377a, v24
	;; [unrolled: 1-line block ×3, first 2 shown]
	v_add_f32_e32 v24, v52, v23
	v_add_f32_e32 v18, v30, v52
	v_fma_f32 v30, -0.5, v24, v30
	v_mov_b32_e32 v24, v30
	v_add_f32_e32 v18, v18, v55
	v_fmac_f32_e32 v24, 0x3f737871, v21
	v_fmac_f32_e32 v30, 0xbf737871, v21
	v_add_f32_e32 v21, v35, v47
	v_add_f32_e32 v0, v26, v60
	v_add_f32_e32 v18, v18, v56
	v_sub_f32_e32 v25, v55, v52
	v_sub_f32_e32 v26, v56, v23
	v_fma_f32 v21, -0.5, v21, v31
	v_add_f32_e32 v18, v18, v23
	v_fmac_f32_e32 v24, 0xbf167918, v19
	v_add_f32_e32 v25, v25, v26
	v_fmac_f32_e32 v30, 0x3f167918, v19
	v_sub_f32_e32 v26, v52, v23
	v_mov_b32_e32 v23, v21
	v_add_f32_e32 v1, v27, v32
	v_fmac_f32_e32 v24, 0x3e9e377a, v25
	v_fmac_f32_e32 v30, 0x3e9e377a, v25
	;; [unrolled: 1-line block ×3, first 2 shown]
	v_sub_f32_e32 v27, v55, v56
	v_sub_f32_e32 v25, v34, v35
	;; [unrolled: 1-line block ×3, first 2 shown]
	v_fmac_f32_e32 v21, 0xbf737871, v26
	v_add_f32_e32 v0, v0, v61
	v_add_f32_e32 v1, v1, v33
	;; [unrolled: 1-line block ×3, first 2 shown]
	v_fmac_f32_e32 v23, 0x3f167918, v27
	v_add_f32_e32 v25, v25, v32
	v_fmac_f32_e32 v21, 0xbf167918, v27
	v_add_f32_e32 v0, v0, v62
	v_add_f32_e32 v1, v1, v36
	;; [unrolled: 1-line block ×3, first 2 shown]
	v_fmac_f32_e32 v23, 0x3e9e377a, v25
	v_fmac_f32_e32 v21, 0x3e9e377a, v25
	v_add_f32_e32 v25, v34, v48
	v_add_f32_e32 v0, v0, v63
	v_add_f32_e32 v1, v1, v37
	v_add_f32_e32 v11, v11, v46
	v_add_f32_e32 v19, v31, v34
	v_fmac_f32_e32 v31, -0.5, v25
	v_add_f32_e32 v19, v19, v35
	v_mov_b32_e32 v25, v31
	ds_write2_b64 v42, v[0:1], v[10:11] offset1:102
	v_add_u32_e32 v0, 0x1000, v42
	v_add_f32_e32 v19, v19, v47
	v_fmac_f32_e32 v25, 0xbf737871, v27
	v_sub_f32_e32 v32, v35, v34
	v_sub_f32_e32 v33, v47, v48
	v_fmac_f32_e32 v31, 0x3f737871, v27
	ds_write2_b64 v0, v[8:9], v[16:17] offset0:100 offset1:202
	v_add_u32_e32 v0, 0x2400, v42
	v_add_f32_e32 v19, v19, v48
	v_fmac_f32_e32 v25, 0x3f167918, v26
	v_add_f32_e32 v32, v32, v33
	v_fmac_f32_e32 v31, 0xbf167918, v26
	ds_write2_b64 v0, v[2:3], v[12:13] offset0:72 offset1:174
	ds_write2_b64 v39, v[18:19], v[4:5] offset0:76 offset1:178
	v_add_u32_e32 v0, 0x800, v42
	v_fmac_f32_e32 v25, 0x3e9e377a, v32
	v_fmac_f32_e32 v31, 0x3e9e377a, v32
	ds_write2_b64 v0, v[14:15], v[22:23] offset0:152 offset1:254
	ds_write2_b64 v59, v[24:25], v[6:7] offset0:48 offset1:150
	v_add_u32_e32 v0, 0x1c00, v42
	ds_write2_b64 v0, v[28:29], v[30:31] offset0:124 offset1:226
	ds_write_b64 v42, v[20:21] offset:11424
	s_waitcnt lgkmcnt(0)
	s_barrier
	s_and_saveexec_b64 s[2:3], s[0:1]
	s_cbranch_execz .LBB0_27
; %bb.26:
	v_lshl_add_u32 v6, v38, 3, 0
	v_mov_b32_e32 v39, 0
	ds_read2_b64 v[0:3], v6 offset1:102
	v_mov_b32_e32 v4, s13
	v_add_co_u32_e32 v7, vcc, s12, v40
	v_addc_co_u32_e32 v8, vcc, v4, v41, vcc
	v_lshlrev_b64 v[4:5], 3, v[38:39]
	v_add_co_u32_e32 v4, vcc, v7, v4
	v_addc_co_u32_e32 v5, vcc, v8, v5, vcc
	s_waitcnt lgkmcnt(0)
	global_store_dwordx2 v[4:5], v[0:1], off
	v_add_u32_e32 v0, 0x66, v38
	v_mov_b32_e32 v1, v39
	v_lshlrev_b64 v[0:1], 3, v[0:1]
	v_add_u32_e32 v4, 0xcc, v38
	v_add_co_u32_e32 v0, vcc, v7, v0
	v_addc_co_u32_e32 v1, vcc, v8, v1, vcc
	global_store_dwordx2 v[0:1], v[2:3], off
	v_add_u32_e32 v0, 0x400, v6
	v_mov_b32_e32 v5, v39
	ds_read2_b64 v[0:3], v0 offset0:76 offset1:178
	v_lshlrev_b64 v[4:5], 3, v[4:5]
	v_add_co_u32_e32 v4, vcc, v7, v4
	v_addc_co_u32_e32 v5, vcc, v8, v5, vcc
	s_waitcnt lgkmcnt(0)
	global_store_dwordx2 v[4:5], v[0:1], off
	v_add_u32_e32 v0, 0x132, v38
	v_mov_b32_e32 v1, v39
	v_lshlrev_b64 v[0:1], 3, v[0:1]
	v_add_u32_e32 v4, 0x198, v38
	v_add_co_u32_e32 v0, vcc, v7, v0
	v_addc_co_u32_e32 v1, vcc, v8, v1, vcc
	global_store_dwordx2 v[0:1], v[2:3], off
	v_add_u32_e32 v0, 0x800, v6
	v_mov_b32_e32 v5, v39
	ds_read2_b64 v[0:3], v0 offset0:152 offset1:254
	;; [unrolled: 15-line block ×6, first 2 shown]
	v_lshlrev_b64 v[4:5], 3, v[4:5]
	v_add_co_u32_e32 v4, vcc, v7, v4
	v_addc_co_u32_e32 v5, vcc, v8, v5, vcc
	s_waitcnt lgkmcnt(0)
	global_store_dwordx2 v[4:5], v[0:1], off
	v_add_u32_e32 v0, 0x52e, v38
	v_mov_b32_e32 v1, v39
	v_lshlrev_b64 v[0:1], 3, v[0:1]
	v_add_u32_e32 v38, 0x594, v38
	v_add_co_u32_e32 v0, vcc, v7, v0
	v_addc_co_u32_e32 v1, vcc, v8, v1, vcc
	global_store_dwordx2 v[0:1], v[2:3], off
	ds_read_b64 v[0:1], v6 offset:11424
	v_lshlrev_b64 v[2:3], 3, v[38:39]
	v_add_co_u32_e32 v2, vcc, v7, v2
	v_addc_co_u32_e32 v3, vcc, v8, v3, vcc
	s_waitcnt lgkmcnt(0)
	global_store_dwordx2 v[2:3], v[0:1], off
.LBB0_27:
	s_endpgm
	.section	.rodata,"a",@progbits
	.p2align	6, 0x0
	.amdhsa_kernel fft_rtc_back_len1530_factors_17_3_6_5_wgs_102_tpt_102_halfLds_sp_ip_CI_unitstride_sbrr_C2R_dirReg
		.amdhsa_group_segment_fixed_size 0
		.amdhsa_private_segment_fixed_size 0
		.amdhsa_kernarg_size 88
		.amdhsa_user_sgpr_count 6
		.amdhsa_user_sgpr_private_segment_buffer 1
		.amdhsa_user_sgpr_dispatch_ptr 0
		.amdhsa_user_sgpr_queue_ptr 0
		.amdhsa_user_sgpr_kernarg_segment_ptr 1
		.amdhsa_user_sgpr_dispatch_id 0
		.amdhsa_user_sgpr_flat_scratch_init 0
		.amdhsa_user_sgpr_private_segment_size 0
		.amdhsa_uses_dynamic_stack 0
		.amdhsa_system_sgpr_private_segment_wavefront_offset 0
		.amdhsa_system_sgpr_workgroup_id_x 1
		.amdhsa_system_sgpr_workgroup_id_y 0
		.amdhsa_system_sgpr_workgroup_id_z 0
		.amdhsa_system_sgpr_workgroup_info 0
		.amdhsa_system_vgpr_workitem_id 0
		.amdhsa_next_free_vgpr 177
		.amdhsa_next_free_sgpr 22
		.amdhsa_reserve_vcc 1
		.amdhsa_reserve_flat_scratch 0
		.amdhsa_float_round_mode_32 0
		.amdhsa_float_round_mode_16_64 0
		.amdhsa_float_denorm_mode_32 3
		.amdhsa_float_denorm_mode_16_64 3
		.amdhsa_dx10_clamp 1
		.amdhsa_ieee_mode 1
		.amdhsa_fp16_overflow 0
		.amdhsa_exception_fp_ieee_invalid_op 0
		.amdhsa_exception_fp_denorm_src 0
		.amdhsa_exception_fp_ieee_div_zero 0
		.amdhsa_exception_fp_ieee_overflow 0
		.amdhsa_exception_fp_ieee_underflow 0
		.amdhsa_exception_fp_ieee_inexact 0
		.amdhsa_exception_int_div_zero 0
	.end_amdhsa_kernel
	.text
.Lfunc_end0:
	.size	fft_rtc_back_len1530_factors_17_3_6_5_wgs_102_tpt_102_halfLds_sp_ip_CI_unitstride_sbrr_C2R_dirReg, .Lfunc_end0-fft_rtc_back_len1530_factors_17_3_6_5_wgs_102_tpt_102_halfLds_sp_ip_CI_unitstride_sbrr_C2R_dirReg
                                        ; -- End function
	.section	.AMDGPU.csdata,"",@progbits
; Kernel info:
; codeLenInByte = 12992
; NumSgprs: 26
; NumVgprs: 177
; ScratchSize: 0
; MemoryBound: 0
; FloatMode: 240
; IeeeMode: 1
; LDSByteSize: 0 bytes/workgroup (compile time only)
; SGPRBlocks: 3
; VGPRBlocks: 44
; NumSGPRsForWavesPerEU: 26
; NumVGPRsForWavesPerEU: 177
; Occupancy: 1
; WaveLimiterHint : 1
; COMPUTE_PGM_RSRC2:SCRATCH_EN: 0
; COMPUTE_PGM_RSRC2:USER_SGPR: 6
; COMPUTE_PGM_RSRC2:TRAP_HANDLER: 0
; COMPUTE_PGM_RSRC2:TGID_X_EN: 1
; COMPUTE_PGM_RSRC2:TGID_Y_EN: 0
; COMPUTE_PGM_RSRC2:TGID_Z_EN: 0
; COMPUTE_PGM_RSRC2:TIDIG_COMP_CNT: 0
	.type	__hip_cuid_9682ec62b242849c,@object ; @__hip_cuid_9682ec62b242849c
	.section	.bss,"aw",@nobits
	.globl	__hip_cuid_9682ec62b242849c
__hip_cuid_9682ec62b242849c:
	.byte	0                               ; 0x0
	.size	__hip_cuid_9682ec62b242849c, 1

	.ident	"AMD clang version 19.0.0git (https://github.com/RadeonOpenCompute/llvm-project roc-6.4.0 25133 c7fe45cf4b819c5991fe208aaa96edf142730f1d)"
	.section	".note.GNU-stack","",@progbits
	.addrsig
	.addrsig_sym __hip_cuid_9682ec62b242849c
	.amdgpu_metadata
---
amdhsa.kernels:
  - .args:
      - .actual_access:  read_only
        .address_space:  global
        .offset:         0
        .size:           8
        .value_kind:     global_buffer
      - .offset:         8
        .size:           8
        .value_kind:     by_value
      - .actual_access:  read_only
        .address_space:  global
        .offset:         16
        .size:           8
        .value_kind:     global_buffer
      - .actual_access:  read_only
        .address_space:  global
        .offset:         24
        .size:           8
        .value_kind:     global_buffer
      - .offset:         32
        .size:           8
        .value_kind:     by_value
      - .actual_access:  read_only
        .address_space:  global
        .offset:         40
        .size:           8
        .value_kind:     global_buffer
      - .actual_access:  read_only
        .address_space:  global
        .offset:         48
        .size:           8
        .value_kind:     global_buffer
      - .offset:         56
        .size:           4
        .value_kind:     by_value
      - .actual_access:  read_only
        .address_space:  global
        .offset:         64
        .size:           8
        .value_kind:     global_buffer
      - .actual_access:  read_only
        .address_space:  global
        .offset:         72
        .size:           8
        .value_kind:     global_buffer
      - .address_space:  global
        .offset:         80
        .size:           8
        .value_kind:     global_buffer
    .group_segment_fixed_size: 0
    .kernarg_segment_align: 8
    .kernarg_segment_size: 88
    .language:       OpenCL C
    .language_version:
      - 2
      - 0
    .max_flat_workgroup_size: 102
    .name:           fft_rtc_back_len1530_factors_17_3_6_5_wgs_102_tpt_102_halfLds_sp_ip_CI_unitstride_sbrr_C2R_dirReg
    .private_segment_fixed_size: 0
    .sgpr_count:     26
    .sgpr_spill_count: 0
    .symbol:         fft_rtc_back_len1530_factors_17_3_6_5_wgs_102_tpt_102_halfLds_sp_ip_CI_unitstride_sbrr_C2R_dirReg.kd
    .uniform_work_group_size: 1
    .uses_dynamic_stack: false
    .vgpr_count:     177
    .vgpr_spill_count: 0
    .wavefront_size: 64
amdhsa.target:   amdgcn-amd-amdhsa--gfx906
amdhsa.version:
  - 1
  - 2
...

	.end_amdgpu_metadata
